;; amdgpu-corpus repo=ROCm/rocBLAS kind=compiled arch=gfx1100 opt=O3
	.text
	.amdgcn_target "amdgcn-amd-amdhsa--gfx1100"
	.amdhsa_code_object_version 6
	.section	.text._ZL26rocblas_haxpy_mlt_8_kernelILi256EPKDF16_S1_PDF16_EviT0_lT1_llT2_lli,"axG",@progbits,_ZL26rocblas_haxpy_mlt_8_kernelILi256EPKDF16_S1_PDF16_EviT0_lT1_llT2_lli,comdat
	.globl	_ZL26rocblas_haxpy_mlt_8_kernelILi256EPKDF16_S1_PDF16_EviT0_lT1_llT2_lli ; -- Begin function _ZL26rocblas_haxpy_mlt_8_kernelILi256EPKDF16_S1_PDF16_EviT0_lT1_llT2_lli
	.p2align	8
	.type	_ZL26rocblas_haxpy_mlt_8_kernelILi256EPKDF16_S1_PDF16_EviT0_lT1_llT2_lli,@function
_ZL26rocblas_haxpy_mlt_8_kernelILi256EPKDF16_S1_PDF16_EviT0_lT1_llT2_lli: ; @_ZL26rocblas_haxpy_mlt_8_kernelILi256EPKDF16_S1_PDF16_EviT0_lT1_llT2_lli
; %bb.0:
	s_load_b512 s[16:31], s[0:1], 0x8
	v_mov_b32_e32 v1, 0
	s_waitcnt lgkmcnt(0)
	s_mul_i32 s3, s15, s19
	s_mul_hi_u32 s4, s15, s18
	s_mul_i32 s2, s15, s18
	s_add_i32 s3, s4, s3
	s_delay_alu instid0(SALU_CYCLE_1) | instskip(NEXT) | instid1(SALU_CYCLE_1)
	s_lshl_b64 s[2:3], s[2:3], 1
	s_add_u32 s2, s16, s2
	s_addc_u32 s3, s17, s3
	global_load_u16 v2, v1, s[2:3]
	s_waitcnt vmcnt(0)
	v_and_b32_e32 v3, 0xffff, v2
	s_delay_alu instid0(VALU_DEP_1) | instskip(NEXT) | instid1(VALU_DEP_1)
	v_lshl_or_b32 v3, v2, 16, v3
	v_and_b32_e32 v3, 0x7fff, v3
	s_delay_alu instid0(VALU_DEP_1)
	v_cmp_eq_u32_e32 vcc_lo, 0, v3
	s_cbranch_vccnz .LBB0_3
; %bb.1:
	s_load_b32 s0, s[0:1], 0x0
	v_lshl_or_b32 v0, s14, 8, v0
	s_delay_alu instid0(VALU_DEP_1)
	v_lshlrev_b64 v[0:1], 3, v[0:1]
	s_waitcnt lgkmcnt(0)
	s_ashr_i32 s1, s0, 31
	s_delay_alu instid0(VALU_DEP_1) | instid1(SALU_CYCLE_1)
	v_cmp_gt_i64_e32 vcc_lo, s[0:1], v[0:1]
	s_and_saveexec_b32 s0, vcc_lo
	s_cbranch_execz .LBB0_3
; %bb.2:
	s_mul_i32 s1, s15, s25
	s_mul_hi_u32 s2, s15, s24
	s_mul_i32 s0, s15, s24
	s_add_i32 s1, s2, s1
	s_mul_i32 s4, s15, s31
	s_lshl_b64 s[0:1], s[0:1], 1
	v_lshlrev_b64 v[0:1], 1, v[0:1]
	s_add_u32 s2, s20, s0
	s_addc_u32 s3, s21, s1
	s_lshl_b64 s[0:1], s[22:23], 1
	s_delay_alu instid0(SALU_CYCLE_1)
	s_add_u32 s2, s0, s2
	s_mul_hi_u32 s0, s15, s30
	s_addc_u32 s3, s1, s3
	s_add_i32 s1, s0, s4
	s_mul_i32 s0, s15, s30
	v_add_co_u32 v3, vcc_lo, s2, v0
	s_lshl_b64 s[0:1], s[0:1], 1
	v_add_co_ci_u32_e32 v4, vcc_lo, s3, v1, vcc_lo
	s_add_u32 s4, s26, s0
	s_addc_u32 s5, s27, s1
	s_lshl_b64 s[0:1], s[28:29], 1
	s_delay_alu instid0(SALU_CYCLE_1)
	s_add_u32 s0, s0, s4
	s_addc_u32 s1, s1, s5
	v_add_co_u32 v0, vcc_lo, s0, v0
	v_add_co_ci_u32_e32 v1, vcc_lo, s1, v1, vcc_lo
	global_load_b128 v[3:6], v[3:4], off
	global_load_b128 v[7:10], v[0:1], off
	s_waitcnt vmcnt(0)
	v_pk_fma_f16 v6, v2, v6, v10 op_sel_hi:[0,1,1]
	v_pk_fma_f16 v5, v2, v5, v9 op_sel_hi:[0,1,1]
	;; [unrolled: 1-line block ×4, first 2 shown]
	global_store_b128 v[0:1], v[3:6], off
.LBB0_3:
	s_nop 0
	s_sendmsg sendmsg(MSG_DEALLOC_VGPRS)
	s_endpgm
	.section	.rodata,"a",@progbits
	.p2align	6, 0x0
	.amdhsa_kernel _ZL26rocblas_haxpy_mlt_8_kernelILi256EPKDF16_S1_PDF16_EviT0_lT1_llT2_lli
		.amdhsa_group_segment_fixed_size 0
		.amdhsa_private_segment_fixed_size 0
		.amdhsa_kernarg_size 76
		.amdhsa_user_sgpr_count 14
		.amdhsa_user_sgpr_dispatch_ptr 0
		.amdhsa_user_sgpr_queue_ptr 0
		.amdhsa_user_sgpr_kernarg_segment_ptr 1
		.amdhsa_user_sgpr_dispatch_id 0
		.amdhsa_user_sgpr_private_segment_size 0
		.amdhsa_wavefront_size32 1
		.amdhsa_uses_dynamic_stack 0
		.amdhsa_enable_private_segment 0
		.amdhsa_system_sgpr_workgroup_id_x 1
		.amdhsa_system_sgpr_workgroup_id_y 0
		.amdhsa_system_sgpr_workgroup_id_z 1
		.amdhsa_system_sgpr_workgroup_info 0
		.amdhsa_system_vgpr_workitem_id 0
		.amdhsa_next_free_vgpr 11
		.amdhsa_next_free_sgpr 32
		.amdhsa_reserve_vcc 1
		.amdhsa_float_round_mode_32 0
		.amdhsa_float_round_mode_16_64 0
		.amdhsa_float_denorm_mode_32 3
		.amdhsa_float_denorm_mode_16_64 3
		.amdhsa_dx10_clamp 1
		.amdhsa_ieee_mode 1
		.amdhsa_fp16_overflow 0
		.amdhsa_workgroup_processor_mode 1
		.amdhsa_memory_ordered 1
		.amdhsa_forward_progress 0
		.amdhsa_shared_vgpr_count 0
		.amdhsa_exception_fp_ieee_invalid_op 0
		.amdhsa_exception_fp_denorm_src 0
		.amdhsa_exception_fp_ieee_div_zero 0
		.amdhsa_exception_fp_ieee_overflow 0
		.amdhsa_exception_fp_ieee_underflow 0
		.amdhsa_exception_fp_ieee_inexact 0
		.amdhsa_exception_int_div_zero 0
	.end_amdhsa_kernel
	.section	.text._ZL26rocblas_haxpy_mlt_8_kernelILi256EPKDF16_S1_PDF16_EviT0_lT1_llT2_lli,"axG",@progbits,_ZL26rocblas_haxpy_mlt_8_kernelILi256EPKDF16_S1_PDF16_EviT0_lT1_llT2_lli,comdat
.Lfunc_end0:
	.size	_ZL26rocblas_haxpy_mlt_8_kernelILi256EPKDF16_S1_PDF16_EviT0_lT1_llT2_lli, .Lfunc_end0-_ZL26rocblas_haxpy_mlt_8_kernelILi256EPKDF16_S1_PDF16_EviT0_lT1_llT2_lli
                                        ; -- End function
	.section	.AMDGPU.csdata,"",@progbits
; Kernel info:
; codeLenInByte = 344
; NumSgprs: 34
; NumVgprs: 11
; ScratchSize: 0
; MemoryBound: 0
; FloatMode: 240
; IeeeMode: 1
; LDSByteSize: 0 bytes/workgroup (compile time only)
; SGPRBlocks: 4
; VGPRBlocks: 1
; NumSGPRsForWavesPerEU: 34
; NumVGPRsForWavesPerEU: 11
; Occupancy: 16
; WaveLimiterHint : 0
; COMPUTE_PGM_RSRC2:SCRATCH_EN: 0
; COMPUTE_PGM_RSRC2:USER_SGPR: 14
; COMPUTE_PGM_RSRC2:TRAP_HANDLER: 0
; COMPUTE_PGM_RSRC2:TGID_X_EN: 1
; COMPUTE_PGM_RSRC2:TGID_Y_EN: 0
; COMPUTE_PGM_RSRC2:TGID_Z_EN: 1
; COMPUTE_PGM_RSRC2:TIDIG_COMP_CNT: 0
	.section	.text._ZL26rocblas_haxpy_mod_8_kernelILi256EPKDF16_S1_PDF16_EviT0_lT1_llT2_lli,"axG",@progbits,_ZL26rocblas_haxpy_mod_8_kernelILi256EPKDF16_S1_PDF16_EviT0_lT1_llT2_lli,comdat
	.globl	_ZL26rocblas_haxpy_mod_8_kernelILi256EPKDF16_S1_PDF16_EviT0_lT1_llT2_lli ; -- Begin function _ZL26rocblas_haxpy_mod_8_kernelILi256EPKDF16_S1_PDF16_EviT0_lT1_llT2_lli
	.p2align	8
	.type	_ZL26rocblas_haxpy_mod_8_kernelILi256EPKDF16_S1_PDF16_EviT0_lT1_llT2_lli,@function
_ZL26rocblas_haxpy_mod_8_kernelILi256EPKDF16_S1_PDF16_EviT0_lT1_llT2_lli: ; @_ZL26rocblas_haxpy_mod_8_kernelILi256EPKDF16_S1_PDF16_EviT0_lT1_llT2_lli
; %bb.0:
	s_clause 0x1
	s_load_b512 s[16:31], s[0:1], 0x8
	s_load_b32 s0, s[0:1], 0x0
	v_mov_b32_e32 v1, 0
	v_lshl_or_b32 v0, s14, 8, v0
	s_waitcnt lgkmcnt(0)
	s_mul_i32 s1, s15, s19
	s_mul_hi_u32 s2, s15, s18
	s_delay_alu instid0(SALU_CYCLE_1)
	s_add_i32 s3, s2, s1
	s_mul_i32 s2, s15, s18
	s_ashr_i32 s1, s0, 31
	s_lshl_b64 s[2:3], s[2:3], 1
	v_cmp_gt_i64_e32 vcc_lo, s[0:1], v[0:1]
	s_add_u32 s2, s16, s2
	s_addc_u32 s3, s17, s3
	global_load_u16 v2, v1, s[2:3]
	s_waitcnt vmcnt(0)
	v_cmp_neq_f16_e64 s0, 0, v2
	s_delay_alu instid0(VALU_DEP_1) | instskip(NEXT) | instid1(SALU_CYCLE_1)
	s_and_b32 s0, vcc_lo, s0
	s_and_saveexec_b32 s1, s0
	s_cbranch_execz .LBB1_2
; %bb.1:
	s_mul_i32 s1, s15, s25
	s_mul_hi_u32 s2, s15, s24
	s_mul_i32 s0, s15, s24
	s_add_i32 s1, s2, s1
	s_mul_i32 s4, s15, s31
	s_lshl_b64 s[0:1], s[0:1], 1
	v_lshlrev_b64 v[0:1], 1, v[0:1]
	s_add_u32 s2, s20, s0
	s_addc_u32 s3, s21, s1
	s_lshl_b64 s[0:1], s[22:23], 1
	s_delay_alu instid0(SALU_CYCLE_1)
	s_add_u32 s2, s0, s2
	s_mul_hi_u32 s0, s15, s30
	s_addc_u32 s3, s1, s3
	s_add_i32 s1, s0, s4
	s_mul_i32 s0, s15, s30
	v_add_co_u32 v3, vcc_lo, s2, v0
	s_lshl_b64 s[0:1], s[0:1], 1
	v_add_co_ci_u32_e32 v4, vcc_lo, s3, v1, vcc_lo
	s_add_u32 s4, s26, s0
	s_addc_u32 s5, s27, s1
	s_lshl_b64 s[0:1], s[28:29], 1
	s_delay_alu instid0(SALU_CYCLE_1)
	s_add_u32 s0, s0, s4
	s_addc_u32 s1, s1, s5
	v_add_co_u32 v0, vcc_lo, s0, v0
	v_add_co_ci_u32_e32 v1, vcc_lo, s1, v1, vcc_lo
	global_load_u16 v3, v[3:4], off
	global_load_u16 v4, v[0:1], off
	s_waitcnt vmcnt(0)
	v_fmac_f16_e32 v4, v2, v3
	global_store_b16 v[0:1], v4, off
.LBB1_2:
	s_nop 0
	s_sendmsg sendmsg(MSG_DEALLOC_VGPRS)
	s_endpgm
	.section	.rodata,"a",@progbits
	.p2align	6, 0x0
	.amdhsa_kernel _ZL26rocblas_haxpy_mod_8_kernelILi256EPKDF16_S1_PDF16_EviT0_lT1_llT2_lli
		.amdhsa_group_segment_fixed_size 0
		.amdhsa_private_segment_fixed_size 0
		.amdhsa_kernarg_size 76
		.amdhsa_user_sgpr_count 14
		.amdhsa_user_sgpr_dispatch_ptr 0
		.amdhsa_user_sgpr_queue_ptr 0
		.amdhsa_user_sgpr_kernarg_segment_ptr 1
		.amdhsa_user_sgpr_dispatch_id 0
		.amdhsa_user_sgpr_private_segment_size 0
		.amdhsa_wavefront_size32 1
		.amdhsa_uses_dynamic_stack 0
		.amdhsa_enable_private_segment 0
		.amdhsa_system_sgpr_workgroup_id_x 1
		.amdhsa_system_sgpr_workgroup_id_y 0
		.amdhsa_system_sgpr_workgroup_id_z 1
		.amdhsa_system_sgpr_workgroup_info 0
		.amdhsa_system_vgpr_workitem_id 0
		.amdhsa_next_free_vgpr 5
		.amdhsa_next_free_sgpr 32
		.amdhsa_reserve_vcc 1
		.amdhsa_float_round_mode_32 0
		.amdhsa_float_round_mode_16_64 0
		.amdhsa_float_denorm_mode_32 3
		.amdhsa_float_denorm_mode_16_64 3
		.amdhsa_dx10_clamp 1
		.amdhsa_ieee_mode 1
		.amdhsa_fp16_overflow 0
		.amdhsa_workgroup_processor_mode 1
		.amdhsa_memory_ordered 1
		.amdhsa_forward_progress 0
		.amdhsa_shared_vgpr_count 0
		.amdhsa_exception_fp_ieee_invalid_op 0
		.amdhsa_exception_fp_denorm_src 0
		.amdhsa_exception_fp_ieee_div_zero 0
		.amdhsa_exception_fp_ieee_overflow 0
		.amdhsa_exception_fp_ieee_underflow 0
		.amdhsa_exception_fp_ieee_inexact 0
		.amdhsa_exception_int_div_zero 0
	.end_amdhsa_kernel
	.section	.text._ZL26rocblas_haxpy_mod_8_kernelILi256EPKDF16_S1_PDF16_EviT0_lT1_llT2_lli,"axG",@progbits,_ZL26rocblas_haxpy_mod_8_kernelILi256EPKDF16_S1_PDF16_EviT0_lT1_llT2_lli,comdat
.Lfunc_end1:
	.size	_ZL26rocblas_haxpy_mod_8_kernelILi256EPKDF16_S1_PDF16_EviT0_lT1_llT2_lli, .Lfunc_end1-_ZL26rocblas_haxpy_mod_8_kernelILi256EPKDF16_S1_PDF16_EviT0_lT1_llT2_lli
                                        ; -- End function
	.section	.AMDGPU.csdata,"",@progbits
; Kernel info:
; codeLenInByte = 276
; NumSgprs: 34
; NumVgprs: 5
; ScratchSize: 0
; MemoryBound: 0
; FloatMode: 240
; IeeeMode: 1
; LDSByteSize: 0 bytes/workgroup (compile time only)
; SGPRBlocks: 4
; VGPRBlocks: 0
; NumSGPRsForWavesPerEU: 34
; NumVGPRsForWavesPerEU: 5
; Occupancy: 16
; WaveLimiterHint : 0
; COMPUTE_PGM_RSRC2:SCRATCH_EN: 0
; COMPUTE_PGM_RSRC2:USER_SGPR: 14
; COMPUTE_PGM_RSRC2:TRAP_HANDLER: 0
; COMPUTE_PGM_RSRC2:TGID_X_EN: 1
; COMPUTE_PGM_RSRC2:TGID_Y_EN: 0
; COMPUTE_PGM_RSRC2:TGID_Z_EN: 1
; COMPUTE_PGM_RSRC2:TIDIG_COMP_CNT: 0
	.section	.text._ZL26rocblas_haxpy_mlt_8_kernelILi256EDF16_PKDF16_PDF16_EviT0_lT1_llT2_lli,"axG",@progbits,_ZL26rocblas_haxpy_mlt_8_kernelILi256EDF16_PKDF16_PDF16_EviT0_lT1_llT2_lli,comdat
	.globl	_ZL26rocblas_haxpy_mlt_8_kernelILi256EDF16_PKDF16_PDF16_EviT0_lT1_llT2_lli ; -- Begin function _ZL26rocblas_haxpy_mlt_8_kernelILi256EDF16_PKDF16_PDF16_EviT0_lT1_llT2_lli
	.p2align	8
	.type	_ZL26rocblas_haxpy_mlt_8_kernelILi256EDF16_PKDF16_PDF16_EviT0_lT1_llT2_lli,@function
_ZL26rocblas_haxpy_mlt_8_kernelILi256EDF16_PKDF16_PDF16_EviT0_lT1_llT2_lli: ; @_ZL26rocblas_haxpy_mlt_8_kernelILi256EDF16_PKDF16_PDF16_EviT0_lT1_llT2_lli
; %bb.0:
	s_load_b64 s[2:3], s[0:1], 0x0
	s_waitcnt lgkmcnt(0)
	s_pack_ll_b32_b16 s4, s3, s3
	s_delay_alu instid0(SALU_CYCLE_1) | instskip(NEXT) | instid1(SALU_CYCLE_1)
	s_and_b32 s4, s4, 0x7fff
	s_cmp_eq_u32 s4, 0
	s_cbranch_scc1 .LBB2_3
; %bb.1:
	v_lshl_or_b32 v0, s14, 8, v0
	v_mov_b32_e32 v1, 0
	s_ashr_i32 s5, s2, 31
	s_mov_b32 s4, s2
	s_mov_b32 s2, exec_lo
	s_delay_alu instid0(VALU_DEP_1) | instskip(NEXT) | instid1(VALU_DEP_1)
	v_lshlrev_b64 v[0:1], 3, v[0:1]
	v_cmpx_gt_i64_e64 s[4:5], v[0:1]
	s_cbranch_execz .LBB2_3
; %bb.2:
	s_clause 0x1
	s_load_b256 s[4:11], s[0:1], 0x10
	s_load_b128 s[16:19], s[0:1], 0x30
	v_lshlrev_b64 v[0:1], 1, v[0:1]
	s_waitcnt lgkmcnt(0)
	s_mul_i32 s1, s15, s9
	s_mul_hi_u32 s2, s15, s8
	s_mul_i32 s0, s15, s8
	s_add_i32 s1, s2, s1
	s_mul_i32 s2, s15, s19
	s_lshl_b64 s[0:1], s[0:1], 1
	s_mul_hi_u32 s8, s15, s18
	s_add_u32 s9, s4, s0
	s_addc_u32 s5, s5, s1
	s_lshl_b64 s[0:1], s[6:7], 1
	s_mul_i32 s4, s15, s18
	s_add_u32 s6, s0, s9
	s_addc_u32 s7, s1, s5
	s_add_i32 s5, s8, s2
	v_add_co_u32 v2, vcc_lo, s6, v0
	s_lshl_b64 s[0:1], s[4:5], 1
	v_add_co_ci_u32_e32 v3, vcc_lo, s7, v1, vcc_lo
	s_add_u32 s2, s10, s0
	s_addc_u32 s4, s11, s1
	s_lshl_b64 s[0:1], s[16:17], 1
	s_delay_alu instid0(SALU_CYCLE_1)
	s_add_u32 s0, s0, s2
	s_addc_u32 s1, s1, s4
	v_add_co_u32 v8, vcc_lo, s0, v0
	v_add_co_ci_u32_e32 v9, vcc_lo, s1, v1, vcc_lo
	global_load_b128 v[0:3], v[2:3], off
	global_load_b128 v[4:7], v[8:9], off
	s_waitcnt vmcnt(0)
	v_pk_fma_f16 v3, s3, v3, v7 op_sel_hi:[0,1,1]
	v_pk_fma_f16 v2, s3, v2, v6 op_sel_hi:[0,1,1]
	;; [unrolled: 1-line block ×4, first 2 shown]
	global_store_b128 v[8:9], v[0:3], off
.LBB2_3:
	s_nop 0
	s_sendmsg sendmsg(MSG_DEALLOC_VGPRS)
	s_endpgm
	.section	.rodata,"a",@progbits
	.p2align	6, 0x0
	.amdhsa_kernel _ZL26rocblas_haxpy_mlt_8_kernelILi256EDF16_PKDF16_PDF16_EviT0_lT1_llT2_lli
		.amdhsa_group_segment_fixed_size 0
		.amdhsa_private_segment_fixed_size 0
		.amdhsa_kernarg_size 68
		.amdhsa_user_sgpr_count 14
		.amdhsa_user_sgpr_dispatch_ptr 0
		.amdhsa_user_sgpr_queue_ptr 0
		.amdhsa_user_sgpr_kernarg_segment_ptr 1
		.amdhsa_user_sgpr_dispatch_id 0
		.amdhsa_user_sgpr_private_segment_size 0
		.amdhsa_wavefront_size32 1
		.amdhsa_uses_dynamic_stack 0
		.amdhsa_enable_private_segment 0
		.amdhsa_system_sgpr_workgroup_id_x 1
		.amdhsa_system_sgpr_workgroup_id_y 0
		.amdhsa_system_sgpr_workgroup_id_z 1
		.amdhsa_system_sgpr_workgroup_info 0
		.amdhsa_system_vgpr_workitem_id 0
		.amdhsa_next_free_vgpr 10
		.amdhsa_next_free_sgpr 20
		.amdhsa_reserve_vcc 1
		.amdhsa_float_round_mode_32 0
		.amdhsa_float_round_mode_16_64 0
		.amdhsa_float_denorm_mode_32 3
		.amdhsa_float_denorm_mode_16_64 3
		.amdhsa_dx10_clamp 1
		.amdhsa_ieee_mode 1
		.amdhsa_fp16_overflow 0
		.amdhsa_workgroup_processor_mode 1
		.amdhsa_memory_ordered 1
		.amdhsa_forward_progress 0
		.amdhsa_shared_vgpr_count 0
		.amdhsa_exception_fp_ieee_invalid_op 0
		.amdhsa_exception_fp_denorm_src 0
		.amdhsa_exception_fp_ieee_div_zero 0
		.amdhsa_exception_fp_ieee_overflow 0
		.amdhsa_exception_fp_ieee_underflow 0
		.amdhsa_exception_fp_ieee_inexact 0
		.amdhsa_exception_int_div_zero 0
	.end_amdhsa_kernel
	.section	.text._ZL26rocblas_haxpy_mlt_8_kernelILi256EDF16_PKDF16_PDF16_EviT0_lT1_llT2_lli,"axG",@progbits,_ZL26rocblas_haxpy_mlt_8_kernelILi256EDF16_PKDF16_PDF16_EviT0_lT1_llT2_lli,comdat
.Lfunc_end2:
	.size	_ZL26rocblas_haxpy_mlt_8_kernelILi256EDF16_PKDF16_PDF16_EviT0_lT1_llT2_lli, .Lfunc_end2-_ZL26rocblas_haxpy_mlt_8_kernelILi256EDF16_PKDF16_PDF16_EviT0_lT1_llT2_lli
                                        ; -- End function
	.section	.AMDGPU.csdata,"",@progbits
; Kernel info:
; codeLenInByte = 296
; NumSgprs: 22
; NumVgprs: 10
; ScratchSize: 0
; MemoryBound: 0
; FloatMode: 240
; IeeeMode: 1
; LDSByteSize: 0 bytes/workgroup (compile time only)
; SGPRBlocks: 2
; VGPRBlocks: 1
; NumSGPRsForWavesPerEU: 22
; NumVGPRsForWavesPerEU: 10
; Occupancy: 16
; WaveLimiterHint : 0
; COMPUTE_PGM_RSRC2:SCRATCH_EN: 0
; COMPUTE_PGM_RSRC2:USER_SGPR: 14
; COMPUTE_PGM_RSRC2:TRAP_HANDLER: 0
; COMPUTE_PGM_RSRC2:TGID_X_EN: 1
; COMPUTE_PGM_RSRC2:TGID_Y_EN: 0
; COMPUTE_PGM_RSRC2:TGID_Z_EN: 1
; COMPUTE_PGM_RSRC2:TIDIG_COMP_CNT: 0
	.section	.text._ZL26rocblas_haxpy_mod_8_kernelILi256EDF16_PKDF16_PDF16_EviT0_lT1_llT2_lli,"axG",@progbits,_ZL26rocblas_haxpy_mod_8_kernelILi256EDF16_PKDF16_PDF16_EviT0_lT1_llT2_lli,comdat
	.globl	_ZL26rocblas_haxpy_mod_8_kernelILi256EDF16_PKDF16_PDF16_EviT0_lT1_llT2_lli ; -- Begin function _ZL26rocblas_haxpy_mod_8_kernelILi256EDF16_PKDF16_PDF16_EviT0_lT1_llT2_lli
	.p2align	8
	.type	_ZL26rocblas_haxpy_mod_8_kernelILi256EDF16_PKDF16_PDF16_EviT0_lT1_llT2_lli,@function
_ZL26rocblas_haxpy_mod_8_kernelILi256EDF16_PKDF16_PDF16_EviT0_lT1_llT2_lli: ; @_ZL26rocblas_haxpy_mod_8_kernelILi256EDF16_PKDF16_PDF16_EviT0_lT1_llT2_lli
; %bb.0:
	s_load_b64 s[2:3], s[0:1], 0x0
	v_mov_b32_e32 v1, 0
	v_lshl_or_b32 v0, s14, 8, v0
	s_waitcnt lgkmcnt(0)
	s_ashr_i32 s5, s2, 31
	s_mov_b32 s4, s2
	v_cmp_neq_f16_e64 s2, s3, 0
	v_cmp_gt_i64_e32 vcc_lo, s[4:5], v[0:1]
	s_delay_alu instid0(VALU_DEP_2) | instskip(NEXT) | instid1(SALU_CYCLE_1)
	s_and_b32 s2, s2, vcc_lo
	s_and_saveexec_b32 s4, s2
	s_cbranch_execz .LBB3_2
; %bb.1:
	s_clause 0x1
	s_load_b256 s[4:11], s[0:1], 0x10
	s_load_b128 s[16:19], s[0:1], 0x30
	v_lshlrev_b64 v[0:1], 1, v[0:1]
	s_waitcnt lgkmcnt(0)
	s_mul_i32 s1, s15, s9
	s_mul_hi_u32 s2, s15, s8
	s_mul_i32 s0, s15, s8
	s_add_i32 s1, s2, s1
	s_mul_i32 s2, s15, s19
	s_lshl_b64 s[0:1], s[0:1], 1
	s_mul_hi_u32 s8, s15, s18
	s_add_u32 s9, s4, s0
	s_addc_u32 s5, s5, s1
	s_lshl_b64 s[0:1], s[6:7], 1
	s_mul_i32 s4, s15, s18
	s_add_u32 s6, s0, s9
	s_addc_u32 s7, s1, s5
	s_add_i32 s5, s8, s2
	v_add_co_u32 v2, vcc_lo, s6, v0
	s_lshl_b64 s[0:1], s[4:5], 1
	v_add_co_ci_u32_e32 v3, vcc_lo, s7, v1, vcc_lo
	s_add_u32 s2, s10, s0
	s_addc_u32 s4, s11, s1
	s_lshl_b64 s[0:1], s[16:17], 1
	s_delay_alu instid0(SALU_CYCLE_1)
	s_add_u32 s0, s0, s2
	s_addc_u32 s1, s1, s4
	v_add_co_u32 v0, vcc_lo, s0, v0
	v_add_co_ci_u32_e32 v1, vcc_lo, s1, v1, vcc_lo
	global_load_u16 v2, v[2:3], off
	global_load_u16 v3, v[0:1], off
	s_waitcnt vmcnt(0)
	v_fmac_f16_e32 v3, s3, v2
	global_store_b16 v[0:1], v3, off
.LBB3_2:
	s_nop 0
	s_sendmsg sendmsg(MSG_DEALLOC_VGPRS)
	s_endpgm
	.section	.rodata,"a",@progbits
	.p2align	6, 0x0
	.amdhsa_kernel _ZL26rocblas_haxpy_mod_8_kernelILi256EDF16_PKDF16_PDF16_EviT0_lT1_llT2_lli
		.amdhsa_group_segment_fixed_size 0
		.amdhsa_private_segment_fixed_size 0
		.amdhsa_kernarg_size 68
		.amdhsa_user_sgpr_count 14
		.amdhsa_user_sgpr_dispatch_ptr 0
		.amdhsa_user_sgpr_queue_ptr 0
		.amdhsa_user_sgpr_kernarg_segment_ptr 1
		.amdhsa_user_sgpr_dispatch_id 0
		.amdhsa_user_sgpr_private_segment_size 0
		.amdhsa_wavefront_size32 1
		.amdhsa_uses_dynamic_stack 0
		.amdhsa_enable_private_segment 0
		.amdhsa_system_sgpr_workgroup_id_x 1
		.amdhsa_system_sgpr_workgroup_id_y 0
		.amdhsa_system_sgpr_workgroup_id_z 1
		.amdhsa_system_sgpr_workgroup_info 0
		.amdhsa_system_vgpr_workitem_id 0
		.amdhsa_next_free_vgpr 4
		.amdhsa_next_free_sgpr 20
		.amdhsa_reserve_vcc 1
		.amdhsa_float_round_mode_32 0
		.amdhsa_float_round_mode_16_64 0
		.amdhsa_float_denorm_mode_32 3
		.amdhsa_float_denorm_mode_16_64 3
		.amdhsa_dx10_clamp 1
		.amdhsa_ieee_mode 1
		.amdhsa_fp16_overflow 0
		.amdhsa_workgroup_processor_mode 1
		.amdhsa_memory_ordered 1
		.amdhsa_forward_progress 0
		.amdhsa_shared_vgpr_count 0
		.amdhsa_exception_fp_ieee_invalid_op 0
		.amdhsa_exception_fp_denorm_src 0
		.amdhsa_exception_fp_ieee_div_zero 0
		.amdhsa_exception_fp_ieee_overflow 0
		.amdhsa_exception_fp_ieee_underflow 0
		.amdhsa_exception_fp_ieee_inexact 0
		.amdhsa_exception_int_div_zero 0
	.end_amdhsa_kernel
	.section	.text._ZL26rocblas_haxpy_mod_8_kernelILi256EDF16_PKDF16_PDF16_EviT0_lT1_llT2_lli,"axG",@progbits,_ZL26rocblas_haxpy_mod_8_kernelILi256EDF16_PKDF16_PDF16_EviT0_lT1_llT2_lli,comdat
.Lfunc_end3:
	.size	_ZL26rocblas_haxpy_mod_8_kernelILi256EDF16_PKDF16_PDF16_EviT0_lT1_llT2_lli, .Lfunc_end3-_ZL26rocblas_haxpy_mod_8_kernelILi256EDF16_PKDF16_PDF16_EviT0_lT1_llT2_lli
                                        ; -- End function
	.section	.AMDGPU.csdata,"",@progbits
; Kernel info:
; codeLenInByte = 244
; NumSgprs: 22
; NumVgprs: 4
; ScratchSize: 0
; MemoryBound: 0
; FloatMode: 240
; IeeeMode: 1
; LDSByteSize: 0 bytes/workgroup (compile time only)
; SGPRBlocks: 2
; VGPRBlocks: 0
; NumSGPRsForWavesPerEU: 22
; NumVGPRsForWavesPerEU: 4
; Occupancy: 16
; WaveLimiterHint : 0
; COMPUTE_PGM_RSRC2:SCRATCH_EN: 0
; COMPUTE_PGM_RSRC2:USER_SGPR: 14
; COMPUTE_PGM_RSRC2:TRAP_HANDLER: 0
; COMPUTE_PGM_RSRC2:TGID_X_EN: 1
; COMPUTE_PGM_RSRC2:TGID_Y_EN: 0
; COMPUTE_PGM_RSRC2:TGID_Z_EN: 1
; COMPUTE_PGM_RSRC2:TIDIG_COMP_CNT: 0
	.section	.text._ZL22rocblas_saxpy_2_kernelILi256EDF16_PKDF16_S1_PDF16_EviT1_lT2_llT3_lli,"axG",@progbits,_ZL22rocblas_saxpy_2_kernelILi256EDF16_PKDF16_S1_PDF16_EviT1_lT2_llT3_lli,comdat
	.globl	_ZL22rocblas_saxpy_2_kernelILi256EDF16_PKDF16_S1_PDF16_EviT1_lT2_llT3_lli ; -- Begin function _ZL22rocblas_saxpy_2_kernelILi256EDF16_PKDF16_S1_PDF16_EviT1_lT2_llT3_lli
	.p2align	8
	.type	_ZL22rocblas_saxpy_2_kernelILi256EDF16_PKDF16_S1_PDF16_EviT1_lT2_llT3_lli,@function
_ZL22rocblas_saxpy_2_kernelILi256EDF16_PKDF16_S1_PDF16_EviT1_lT2_llT3_lli: ; @_ZL22rocblas_saxpy_2_kernelILi256EDF16_PKDF16_S1_PDF16_EviT1_lT2_llT3_lli
; %bb.0:
	s_load_b128 s[4:7], s[0:1], 0x8
	v_mov_b32_e32 v1, 0
	s_waitcnt lgkmcnt(0)
	s_mul_i32 s3, s15, s7
	s_mul_hi_u32 s7, s15, s6
	s_mul_i32 s2, s15, s6
	s_add_i32 s3, s7, s3
	s_delay_alu instid0(SALU_CYCLE_1) | instskip(NEXT) | instid1(SALU_CYCLE_1)
	s_lshl_b64 s[2:3], s[2:3], 1
	s_add_u32 s2, s4, s2
	s_addc_u32 s3, s5, s3
	global_load_u16 v4, v1, s[2:3]
	s_waitcnt vmcnt(0)
	v_cmp_eq_f16_e32 vcc_lo, 0, v4
	s_cbranch_vccnz .LBB4_5
; %bb.1:
	s_clause 0x4
	s_load_b128 s[4:7], s[0:1], 0x20
	s_load_b128 s[8:11], s[0:1], 0x38
	s_load_b64 s[12:13], s[0:1], 0x18
	s_load_b64 s[16:17], s[0:1], 0x30
	s_load_b32 s2, s[0:1], 0x0
	v_lshlrev_b32_e32 v0, 1, v0
	s_delay_alu instid0(VALU_DEP_1) | instskip(NEXT) | instid1(VALU_DEP_1)
	v_lshl_or_b32 v0, s14, 9, v0
	v_lshlrev_b64 v[2:3], 1, v[0:1]
	s_waitcnt lgkmcnt(0)
	s_mul_i32 s1, s15, s7
	s_mul_hi_u32 s3, s15, s6
	s_mul_i32 s0, s15, s6
	s_add_i32 s1, s3, s1
	s_mul_i32 s7, s15, s11
	s_lshl_b64 s[0:1], s[0:1], 1
	s_mul_hi_u32 s11, s15, s10
	s_add_u32 s3, s12, s0
	s_addc_u32 s12, s13, s1
	s_lshl_b64 s[0:1], s[4:5], 1
	s_mul_i32 s6, s15, s10
	s_add_u32 s3, s3, s0
	s_addc_u32 s4, s12, s1
	s_add_i32 s7, s11, s7
	s_delay_alu instid0(SALU_CYCLE_1) | instskip(SKIP_4) | instid1(SALU_CYCLE_1)
	s_lshl_b64 s[0:1], s[6:7], 1
	s_mov_b32 s7, exec_lo
	s_add_u32 s5, s16, s0
	s_addc_u32 s6, s17, s1
	s_lshl_b64 s[0:1], s[8:9], 1
	s_add_u32 s5, s5, s0
	s_addc_u32 s6, s6, s1
	s_add_i32 s0, s2, -1
	s_delay_alu instid0(SALU_CYCLE_1) | instskip(NEXT) | instid1(SALU_CYCLE_1)
	s_ashr_i32 s1, s0, 31
	v_cmpx_gt_i64_e64 s[0:1], v[0:1]
	s_cbranch_execz .LBB4_3
; %bb.2:
	v_add_co_u32 v5, vcc_lo, s5, v2
	v_add_co_ci_u32_e32 v6, vcc_lo, s6, v3, vcc_lo
	v_add_co_u32 v7, vcc_lo, s3, v2
	v_add_co_ci_u32_e32 v8, vcc_lo, s4, v3, vcc_lo
	global_load_b32 v9, v[5:6], off
	global_load_b32 v7, v[7:8], off
	s_waitcnt vmcnt(0)
	v_pk_fma_f16 v7, v4, v7, v9 op_sel_hi:[0,1,1]
	global_store_b32 v[5:6], v7, off
.LBB4_3:
	s_or_b32 exec_lo, exec_lo, s7
	v_cmp_eq_u64_e32 vcc_lo, s[0:1], v[0:1]
	s_bitcmp1_b32 s2, 0
	s_cselect_b32 s0, -1, 0
	s_delay_alu instid0(SALU_CYCLE_1) | instskip(NEXT) | instid1(SALU_CYCLE_1)
	s_and_b32 s0, s0, vcc_lo
	s_and_saveexec_b32 s1, s0
	s_cbranch_execz .LBB4_5
; %bb.4:
	v_add_co_u32 v0, vcc_lo, s5, v2
	v_add_co_ci_u32_e32 v1, vcc_lo, s6, v3, vcc_lo
	v_add_co_u32 v2, vcc_lo, s3, v2
	v_add_co_ci_u32_e32 v3, vcc_lo, s4, v3, vcc_lo
	global_load_u16 v5, v[0:1], off
	global_load_u16 v2, v[2:3], off
	s_waitcnt vmcnt(0)
	v_fmac_f16_e32 v5, v4, v2
	global_store_b16 v[0:1], v5, off
.LBB4_5:
	s_nop 0
	s_sendmsg sendmsg(MSG_DEALLOC_VGPRS)
	s_endpgm
	.section	.rodata,"a",@progbits
	.p2align	6, 0x0
	.amdhsa_kernel _ZL22rocblas_saxpy_2_kernelILi256EDF16_PKDF16_S1_PDF16_EviT1_lT2_llT3_lli
		.amdhsa_group_segment_fixed_size 0
		.amdhsa_private_segment_fixed_size 0
		.amdhsa_kernarg_size 76
		.amdhsa_user_sgpr_count 14
		.amdhsa_user_sgpr_dispatch_ptr 0
		.amdhsa_user_sgpr_queue_ptr 0
		.amdhsa_user_sgpr_kernarg_segment_ptr 1
		.amdhsa_user_sgpr_dispatch_id 0
		.amdhsa_user_sgpr_private_segment_size 0
		.amdhsa_wavefront_size32 1
		.amdhsa_uses_dynamic_stack 0
		.amdhsa_enable_private_segment 0
		.amdhsa_system_sgpr_workgroup_id_x 1
		.amdhsa_system_sgpr_workgroup_id_y 0
		.amdhsa_system_sgpr_workgroup_id_z 1
		.amdhsa_system_sgpr_workgroup_info 0
		.amdhsa_system_vgpr_workitem_id 0
		.amdhsa_next_free_vgpr 10
		.amdhsa_next_free_sgpr 18
		.amdhsa_reserve_vcc 1
		.amdhsa_float_round_mode_32 0
		.amdhsa_float_round_mode_16_64 0
		.amdhsa_float_denorm_mode_32 3
		.amdhsa_float_denorm_mode_16_64 3
		.amdhsa_dx10_clamp 1
		.amdhsa_ieee_mode 1
		.amdhsa_fp16_overflow 0
		.amdhsa_workgroup_processor_mode 1
		.amdhsa_memory_ordered 1
		.amdhsa_forward_progress 0
		.amdhsa_shared_vgpr_count 0
		.amdhsa_exception_fp_ieee_invalid_op 0
		.amdhsa_exception_fp_denorm_src 0
		.amdhsa_exception_fp_ieee_div_zero 0
		.amdhsa_exception_fp_ieee_overflow 0
		.amdhsa_exception_fp_ieee_underflow 0
		.amdhsa_exception_fp_ieee_inexact 0
		.amdhsa_exception_int_div_zero 0
	.end_amdhsa_kernel
	.section	.text._ZL22rocblas_saxpy_2_kernelILi256EDF16_PKDF16_S1_PDF16_EviT1_lT2_llT3_lli,"axG",@progbits,_ZL22rocblas_saxpy_2_kernelILi256EDF16_PKDF16_S1_PDF16_EviT1_lT2_llT3_lli,comdat
.Lfunc_end4:
	.size	_ZL22rocblas_saxpy_2_kernelILi256EDF16_PKDF16_S1_PDF16_EviT1_lT2_llT3_lli, .Lfunc_end4-_ZL22rocblas_saxpy_2_kernelILi256EDF16_PKDF16_S1_PDF16_EviT1_lT2_llT3_lli
                                        ; -- End function
	.section	.AMDGPU.csdata,"",@progbits
; Kernel info:
; codeLenInByte = 412
; NumSgprs: 20
; NumVgprs: 10
; ScratchSize: 0
; MemoryBound: 0
; FloatMode: 240
; IeeeMode: 1
; LDSByteSize: 0 bytes/workgroup (compile time only)
; SGPRBlocks: 2
; VGPRBlocks: 1
; NumSGPRsForWavesPerEU: 20
; NumVGPRsForWavesPerEU: 10
; Occupancy: 16
; WaveLimiterHint : 0
; COMPUTE_PGM_RSRC2:SCRATCH_EN: 0
; COMPUTE_PGM_RSRC2:USER_SGPR: 14
; COMPUTE_PGM_RSRC2:TRAP_HANDLER: 0
; COMPUTE_PGM_RSRC2:TGID_X_EN: 1
; COMPUTE_PGM_RSRC2:TGID_Y_EN: 0
; COMPUTE_PGM_RSRC2:TGID_Z_EN: 1
; COMPUTE_PGM_RSRC2:TIDIG_COMP_CNT: 0
	.section	.text._ZL22rocblas_saxpy_2_kernelILi256EDF16_DF16_PKDF16_PDF16_EviT1_lT2_llT3_lli,"axG",@progbits,_ZL22rocblas_saxpy_2_kernelILi256EDF16_DF16_PKDF16_PDF16_EviT1_lT2_llT3_lli,comdat
	.globl	_ZL22rocblas_saxpy_2_kernelILi256EDF16_DF16_PKDF16_PDF16_EviT1_lT2_llT3_lli ; -- Begin function _ZL22rocblas_saxpy_2_kernelILi256EDF16_DF16_PKDF16_PDF16_EviT1_lT2_llT3_lli
	.p2align	8
	.type	_ZL22rocblas_saxpy_2_kernelILi256EDF16_DF16_PKDF16_PDF16_EviT1_lT2_llT3_lli,@function
_ZL22rocblas_saxpy_2_kernelILi256EDF16_DF16_PKDF16_PDF16_EviT1_lT2_llT3_lli: ; @_ZL22rocblas_saxpy_2_kernelILi256EDF16_DF16_PKDF16_PDF16_EviT1_lT2_llT3_lli
; %bb.0:
	s_load_b64 s[2:3], s[0:1], 0x0
	s_waitcnt lgkmcnt(0)
	v_cmp_eq_f16_e64 s4, s3, 0
	s_delay_alu instid0(VALU_DEP_1)
	s_and_b32 vcc_lo, exec_lo, s4
	s_cbranch_vccnz .LBB5_5
; %bb.1:
	s_clause 0x3
	s_load_b128 s[4:7], s[0:1], 0x18
	s_load_b128 s[8:11], s[0:1], 0x30
	s_load_b64 s[12:13], s[0:1], 0x10
	s_load_b64 s[0:1], s[0:1], 0x28
	v_dual_mov_b32 v3, 0 :: v_dual_lshlrev_b32 v0, 1, v0
	s_delay_alu instid0(VALU_DEP_1) | instskip(NEXT) | instid1(VALU_DEP_1)
	v_lshl_or_b32 v2, s14, 9, v0
	v_lshlrev_b64 v[0:1], 1, v[2:3]
	s_waitcnt lgkmcnt(0)
	s_mul_i32 s7, s15, s7
	s_mul_hi_u32 s16, s15, s6
	s_mul_i32 s6, s15, s6
	s_add_i32 s7, s16, s7
	s_mul_i32 s11, s15, s11
	s_lshl_b64 s[6:7], s[6:7], 1
	s_mul_hi_u32 s16, s15, s10
	s_add_u32 s12, s12, s6
	s_addc_u32 s7, s13, s7
	s_lshl_b64 s[4:5], s[4:5], 1
	s_mul_i32 s6, s15, s10
	s_add_u32 s4, s12, s4
	s_addc_u32 s5, s7, s5
	s_add_i32 s7, s16, s11
	s_delay_alu instid0(SALU_CYCLE_1) | instskip(NEXT) | instid1(SALU_CYCLE_1)
	s_lshl_b64 s[6:7], s[6:7], 1
	s_add_u32 s6, s0, s6
	s_addc_u32 s7, s1, s7
	s_lshl_b64 s[0:1], s[8:9], 1
	s_mov_b32 s8, exec_lo
	s_add_u32 s6, s6, s0
	s_addc_u32 s7, s7, s1
	s_add_i32 s0, s2, -1
	s_delay_alu instid0(SALU_CYCLE_1) | instskip(NEXT) | instid1(SALU_CYCLE_1)
	s_ashr_i32 s1, s0, 31
	v_cmpx_gt_i64_e64 s[0:1], v[2:3]
	s_cbranch_execz .LBB5_3
; %bb.2:
	v_add_co_u32 v4, vcc_lo, s6, v0
	v_add_co_ci_u32_e32 v5, vcc_lo, s7, v1, vcc_lo
	v_add_co_u32 v6, vcc_lo, s4, v0
	v_add_co_ci_u32_e32 v7, vcc_lo, s5, v1, vcc_lo
	global_load_b32 v8, v[4:5], off
	global_load_b32 v6, v[6:7], off
	s_waitcnt vmcnt(0)
	v_pk_fma_f16 v6, v6, s3, v8 op_sel_hi:[1,0,1]
	global_store_b32 v[4:5], v6, off
.LBB5_3:
	s_or_b32 exec_lo, exec_lo, s8
	v_cmp_eq_u64_e32 vcc_lo, s[0:1], v[2:3]
	s_bitcmp1_b32 s2, 0
	s_cselect_b32 s0, -1, 0
	s_delay_alu instid0(SALU_CYCLE_1) | instskip(NEXT) | instid1(SALU_CYCLE_1)
	s_and_b32 s0, s0, vcc_lo
	s_and_saveexec_b32 s1, s0
	s_cbranch_execz .LBB5_5
; %bb.4:
	v_add_co_u32 v2, vcc_lo, s6, v0
	v_add_co_ci_u32_e32 v3, vcc_lo, s7, v1, vcc_lo
	v_add_co_u32 v0, vcc_lo, s4, v0
	v_add_co_ci_u32_e32 v1, vcc_lo, s5, v1, vcc_lo
	global_load_u16 v4, v[2:3], off
	global_load_u16 v0, v[0:1], off
	s_waitcnt vmcnt(0)
	v_fmac_f16_e32 v4, s3, v0
	global_store_b16 v[2:3], v4, off
.LBB5_5:
	s_nop 0
	s_sendmsg sendmsg(MSG_DEALLOC_VGPRS)
	s_endpgm
	.section	.rodata,"a",@progbits
	.p2align	6, 0x0
	.amdhsa_kernel _ZL22rocblas_saxpy_2_kernelILi256EDF16_DF16_PKDF16_PDF16_EviT1_lT2_llT3_lli
		.amdhsa_group_segment_fixed_size 0
		.amdhsa_private_segment_fixed_size 0
		.amdhsa_kernarg_size 68
		.amdhsa_user_sgpr_count 14
		.amdhsa_user_sgpr_dispatch_ptr 0
		.amdhsa_user_sgpr_queue_ptr 0
		.amdhsa_user_sgpr_kernarg_segment_ptr 1
		.amdhsa_user_sgpr_dispatch_id 0
		.amdhsa_user_sgpr_private_segment_size 0
		.amdhsa_wavefront_size32 1
		.amdhsa_uses_dynamic_stack 0
		.amdhsa_enable_private_segment 0
		.amdhsa_system_sgpr_workgroup_id_x 1
		.amdhsa_system_sgpr_workgroup_id_y 0
		.amdhsa_system_sgpr_workgroup_id_z 1
		.amdhsa_system_sgpr_workgroup_info 0
		.amdhsa_system_vgpr_workitem_id 0
		.amdhsa_next_free_vgpr 9
		.amdhsa_next_free_sgpr 17
		.amdhsa_reserve_vcc 1
		.amdhsa_float_round_mode_32 0
		.amdhsa_float_round_mode_16_64 0
		.amdhsa_float_denorm_mode_32 3
		.amdhsa_float_denorm_mode_16_64 3
		.amdhsa_dx10_clamp 1
		.amdhsa_ieee_mode 1
		.amdhsa_fp16_overflow 0
		.amdhsa_workgroup_processor_mode 1
		.amdhsa_memory_ordered 1
		.amdhsa_forward_progress 0
		.amdhsa_shared_vgpr_count 0
		.amdhsa_exception_fp_ieee_invalid_op 0
		.amdhsa_exception_fp_denorm_src 0
		.amdhsa_exception_fp_ieee_div_zero 0
		.amdhsa_exception_fp_ieee_overflow 0
		.amdhsa_exception_fp_ieee_underflow 0
		.amdhsa_exception_fp_ieee_inexact 0
		.amdhsa_exception_int_div_zero 0
	.end_amdhsa_kernel
	.section	.text._ZL22rocblas_saxpy_2_kernelILi256EDF16_DF16_PKDF16_PDF16_EviT1_lT2_llT3_lli,"axG",@progbits,_ZL22rocblas_saxpy_2_kernelILi256EDF16_DF16_PKDF16_PDF16_EviT1_lT2_llT3_lli,comdat
.Lfunc_end5:
	.size	_ZL22rocblas_saxpy_2_kernelILi256EDF16_DF16_PKDF16_PDF16_EviT1_lT2_llT3_lli, .Lfunc_end5-_ZL22rocblas_saxpy_2_kernelILi256EDF16_DF16_PKDF16_PDF16_EviT1_lT2_llT3_lli
                                        ; -- End function
	.section	.AMDGPU.csdata,"",@progbits
; Kernel info:
; codeLenInByte = 372
; NumSgprs: 19
; NumVgprs: 9
; ScratchSize: 0
; MemoryBound: 0
; FloatMode: 240
; IeeeMode: 1
; LDSByteSize: 0 bytes/workgroup (compile time only)
; SGPRBlocks: 2
; VGPRBlocks: 1
; NumSGPRsForWavesPerEU: 19
; NumVGPRsForWavesPerEU: 9
; Occupancy: 16
; WaveLimiterHint : 0
; COMPUTE_PGM_RSRC2:SCRATCH_EN: 0
; COMPUTE_PGM_RSRC2:USER_SGPR: 14
; COMPUTE_PGM_RSRC2:TRAP_HANDLER: 0
; COMPUTE_PGM_RSRC2:TGID_X_EN: 1
; COMPUTE_PGM_RSRC2:TGID_Y_EN: 0
; COMPUTE_PGM_RSRC2:TGID_Z_EN: 1
; COMPUTE_PGM_RSRC2:TIDIG_COMP_CNT: 0
	.section	.text._ZL27rocblas_axpy_kernel_batchedIiLi128ELi8EDF16_PKDF16_S1_PDF16_EviT3_lT4_lT_lT5_lS5_li,"axG",@progbits,_ZL27rocblas_axpy_kernel_batchedIiLi128ELi8EDF16_PKDF16_S1_PDF16_EviT3_lT4_lT_lT5_lS5_li,comdat
	.globl	_ZL27rocblas_axpy_kernel_batchedIiLi128ELi8EDF16_PKDF16_S1_PDF16_EviT3_lT4_lT_lT5_lS5_li ; -- Begin function _ZL27rocblas_axpy_kernel_batchedIiLi128ELi8EDF16_PKDF16_S1_PDF16_EviT3_lT4_lT_lT5_lS5_li
	.p2align	8
	.type	_ZL27rocblas_axpy_kernel_batchedIiLi128ELi8EDF16_PKDF16_S1_PDF16_EviT3_lT4_lT_lT5_lS5_li,@function
_ZL27rocblas_axpy_kernel_batchedIiLi128ELi8EDF16_PKDF16_S1_PDF16_EviT3_lT4_lT_lT5_lS5_li: ; @_ZL27rocblas_axpy_kernel_batchedIiLi128ELi8EDF16_PKDF16_S1_PDF16_EviT3_lT4_lT_lT5_lS5_li
; %bb.0:
	s_load_b32 s2, s[0:1], 0x0
	v_dual_mov_b32 v2, 0 :: v_dual_and_b32 v1, 0x3ff, v0
	s_delay_alu instid0(VALU_DEP_1)
	v_lshl_add_u32 v1, s14, 7, v1
	s_waitcnt lgkmcnt(0)
	s_ashr_i32 s3, s2, 31
	s_delay_alu instid0(VALU_DEP_1) | instid1(SALU_CYCLE_1)
	v_cmp_gt_i64_e32 vcc_lo, s[2:3], v[1:2]
	s_and_saveexec_b32 s2, vcc_lo
	s_cbranch_execz .LBB6_13
; %bb.1:
	s_clause 0x6
	s_load_b32 s13, s[0:1], 0x28
	s_load_b32 s14, s[0:1], 0x48
	s_load_b256 s[4:11], s[0:1], 0x8
	s_load_b128 s[16:19], s[0:1], 0x30
	s_load_b64 s[2:3], s[0:1], 0x50
	s_load_b32 s12, s[0:1], 0x58
	s_load_b64 s[0:1], s[0:1], 0x40
	v_bfe_u32 v0, v0, 10, 10
	s_waitcnt lgkmcnt(0)
	v_mad_u64_u32 v[2:3], null, s13, v1, 0
	v_mad_u64_u32 v[5:6], null, s14, v1, 0
	s_ashr_i32 s13, s13, 31
	s_lshl_b64 s[10:11], s[10:11], 1
	s_delay_alu instid0(VALU_DEP_1) | instskip(NEXT) | instid1(VALU_DEP_1)
	v_mov_b32_e32 v4, v6
	v_mad_u64_u32 v[6:7], null, s13, v1, v[3:4]
	s_ashr_i32 s13, s14, 31
	s_add_u32 s8, s10, s8
	s_delay_alu instid0(VALU_DEP_3) | instskip(SKIP_2) | instid1(VALU_DEP_3)
	v_mad_u64_u32 v[7:8], null, s13, v1, v[4:5]
	v_lshlrev_b32_e32 v4, 2, v0
	s_addc_u32 s9, s11, s9
	v_mov_b32_e32 v3, v6
	s_lshl_b64 s[0:1], s[0:1], 1
	s_delay_alu instid0(SALU_CYCLE_1) | instskip(NEXT) | instid1(VALU_DEP_3)
	s_add_u32 s0, s0, s18
	v_mov_b32_e32 v6, v7
	s_delay_alu instid0(VALU_DEP_2) | instskip(SKIP_2) | instid1(VALU_DEP_3)
	v_lshlrev_b64 v[0:1], 1, v[2:3]
	s_addc_u32 s1, s1, s19
	v_lshl_add_u32 v4, s15, 5, v4
	v_lshlrev_b64 v[2:3], 1, v[5:6]
	s_delay_alu instid0(VALU_DEP_3) | instskip(NEXT) | instid1(VALU_DEP_4)
	v_add_co_u32 v0, vcc_lo, s8, v0
	v_add_co_ci_u32_e32 v1, vcc_lo, s9, v1, vcc_lo
	s_delay_alu instid0(VALU_DEP_3) | instskip(NEXT) | instid1(VALU_DEP_4)
	v_add_co_u32 v2, vcc_lo, s0, v2
	v_add_co_ci_u32_e32 v3, vcc_lo, s1, v3, vcc_lo
	s_mov_b32 s0, exec_lo
	v_cmpx_gt_u32_e64 s12, v4
	s_cbranch_execz .LBB6_4
; %bb.2:
	v_mad_u64_u32 v[5:6], null, v4, s6, 0
	s_delay_alu instid0(VALU_DEP_1) | instskip(NEXT) | instid1(VALU_DEP_1)
	v_mad_u64_u32 v[7:8], null, v4, s7, v[6:7]
	v_mov_b32_e32 v6, v7
	s_delay_alu instid0(VALU_DEP_1) | instskip(NEXT) | instid1(VALU_DEP_1)
	v_lshlrev_b64 v[5:6], 1, v[5:6]
	v_add_co_u32 v5, vcc_lo, s4, v5
	s_delay_alu instid0(VALU_DEP_2)
	v_add_co_ci_u32_e32 v6, vcc_lo, s5, v6, vcc_lo
	global_load_u16 v5, v[5:6], off
	s_waitcnt vmcnt(0)
	v_cmp_neq_f16_e32 vcc_lo, 0, v5
	s_and_b32 exec_lo, exec_lo, vcc_lo
	s_cbranch_execz .LBB6_4
; %bb.3:
	v_mad_u64_u32 v[6:7], null, v4, s2, 0
	v_mad_u64_u32 v[8:9], null, v4, s16, 0
	s_delay_alu instid0(VALU_DEP_1) | instskip(NEXT) | instid1(VALU_DEP_1)
	v_mad_u64_u32 v[10:11], null, v4, s3, v[7:8]
	v_mad_u64_u32 v[11:12], null, v4, s17, v[9:10]
	v_mov_b32_e32 v7, v10
	s_delay_alu instid0(VALU_DEP_1) | instskip(NEXT) | instid1(VALU_DEP_3)
	v_lshlrev_b64 v[6:7], 1, v[6:7]
	v_mov_b32_e32 v9, v11
	s_delay_alu instid0(VALU_DEP_2) | instskip(NEXT) | instid1(VALU_DEP_2)
	v_add_co_u32 v6, vcc_lo, v2, v6
	v_lshlrev_b64 v[8:9], 1, v[8:9]
	s_delay_alu instid0(VALU_DEP_4) | instskip(NEXT) | instid1(VALU_DEP_2)
	v_add_co_ci_u32_e32 v7, vcc_lo, v3, v7, vcc_lo
	v_add_co_u32 v8, vcc_lo, v0, v8
	s_delay_alu instid0(VALU_DEP_3)
	v_add_co_ci_u32_e32 v9, vcc_lo, v1, v9, vcc_lo
	global_load_u16 v10, v[6:7], off
	global_load_u16 v8, v[8:9], off
	s_waitcnt vmcnt(0)
	v_fmac_f16_e32 v10, v5, v8
	global_store_b16 v[6:7], v10, off
.LBB6_4:
	s_or_b32 exec_lo, exec_lo, s0
	v_or_b32_e32 v5, 1, v4
	s_mov_b32 s0, exec_lo
	s_delay_alu instid0(VALU_DEP_1)
	v_cmpx_gt_u32_e64 s12, v5
	s_cbranch_execz .LBB6_7
; %bb.5:
	v_mad_u64_u32 v[6:7], null, v5, s6, 0
	s_delay_alu instid0(VALU_DEP_1) | instskip(NEXT) | instid1(VALU_DEP_1)
	v_mad_u64_u32 v[8:9], null, v5, s7, v[7:8]
	v_mov_b32_e32 v7, v8
	s_delay_alu instid0(VALU_DEP_1) | instskip(NEXT) | instid1(VALU_DEP_1)
	v_lshlrev_b64 v[6:7], 1, v[6:7]
	v_add_co_u32 v6, vcc_lo, s4, v6
	s_delay_alu instid0(VALU_DEP_2)
	v_add_co_ci_u32_e32 v7, vcc_lo, s5, v7, vcc_lo
	global_load_u16 v6, v[6:7], off
	s_waitcnt vmcnt(0)
	v_cmp_neq_f16_e32 vcc_lo, 0, v6
	s_and_b32 exec_lo, exec_lo, vcc_lo
	s_cbranch_execz .LBB6_7
; %bb.6:
	v_mad_u64_u32 v[7:8], null, v5, s2, 0
	v_mad_u64_u32 v[9:10], null, v5, s16, 0
	s_delay_alu instid0(VALU_DEP_1) | instskip(NEXT) | instid1(VALU_DEP_1)
	v_mad_u64_u32 v[11:12], null, v5, s3, v[8:9]
	v_mad_u64_u32 v[12:13], null, v5, s17, v[10:11]
	v_mov_b32_e32 v8, v11
	s_delay_alu instid0(VALU_DEP_1) | instskip(NEXT) | instid1(VALU_DEP_3)
	v_lshlrev_b64 v[7:8], 1, v[7:8]
	v_mov_b32_e32 v10, v12
	s_delay_alu instid0(VALU_DEP_2) | instskip(NEXT) | instid1(VALU_DEP_2)
	v_add_co_u32 v7, vcc_lo, v2, v7
	v_lshlrev_b64 v[9:10], 1, v[9:10]
	s_delay_alu instid0(VALU_DEP_4) | instskip(NEXT) | instid1(VALU_DEP_2)
	v_add_co_ci_u32_e32 v8, vcc_lo, v3, v8, vcc_lo
	v_add_co_u32 v9, vcc_lo, v0, v9
	s_delay_alu instid0(VALU_DEP_3)
	v_add_co_ci_u32_e32 v10, vcc_lo, v1, v10, vcc_lo
	global_load_u16 v5, v[7:8], off
	global_load_u16 v9, v[9:10], off
	s_waitcnt vmcnt(0)
	v_fmac_f16_e32 v5, v6, v9
	global_store_b16 v[7:8], v5, off
.LBB6_7:
	s_or_b32 exec_lo, exec_lo, s0
	v_or_b32_e32 v5, 2, v4
	s_mov_b32 s0, exec_lo
	s_delay_alu instid0(VALU_DEP_1)
	v_cmpx_gt_u32_e64 s12, v5
	s_cbranch_execz .LBB6_10
; %bb.8:
	v_mad_u64_u32 v[6:7], null, v5, s6, 0
	s_delay_alu instid0(VALU_DEP_1) | instskip(NEXT) | instid1(VALU_DEP_1)
	v_mad_u64_u32 v[8:9], null, v5, s7, v[7:8]
	v_mov_b32_e32 v7, v8
	s_delay_alu instid0(VALU_DEP_1) | instskip(NEXT) | instid1(VALU_DEP_1)
	v_lshlrev_b64 v[6:7], 1, v[6:7]
	v_add_co_u32 v6, vcc_lo, s4, v6
	s_delay_alu instid0(VALU_DEP_2)
	v_add_co_ci_u32_e32 v7, vcc_lo, s5, v7, vcc_lo
	global_load_u16 v6, v[6:7], off
	s_waitcnt vmcnt(0)
	v_cmp_neq_f16_e32 vcc_lo, 0, v6
	s_and_b32 exec_lo, exec_lo, vcc_lo
	s_cbranch_execz .LBB6_10
; %bb.9:
	v_mad_u64_u32 v[7:8], null, v5, s2, 0
	v_mad_u64_u32 v[9:10], null, v5, s16, 0
	s_delay_alu instid0(VALU_DEP_1) | instskip(NEXT) | instid1(VALU_DEP_1)
	v_mad_u64_u32 v[11:12], null, v5, s3, v[8:9]
	v_mad_u64_u32 v[12:13], null, v5, s17, v[10:11]
	v_mov_b32_e32 v8, v11
	s_delay_alu instid0(VALU_DEP_1) | instskip(NEXT) | instid1(VALU_DEP_3)
	v_lshlrev_b64 v[7:8], 1, v[7:8]
	v_mov_b32_e32 v10, v12
	s_delay_alu instid0(VALU_DEP_2) | instskip(NEXT) | instid1(VALU_DEP_2)
	v_add_co_u32 v7, vcc_lo, v2, v7
	v_lshlrev_b64 v[9:10], 1, v[9:10]
	s_delay_alu instid0(VALU_DEP_4) | instskip(NEXT) | instid1(VALU_DEP_2)
	v_add_co_ci_u32_e32 v8, vcc_lo, v3, v8, vcc_lo
	v_add_co_u32 v9, vcc_lo, v0, v9
	s_delay_alu instid0(VALU_DEP_3)
	v_add_co_ci_u32_e32 v10, vcc_lo, v1, v10, vcc_lo
	global_load_u16 v5, v[7:8], off
	global_load_u16 v9, v[9:10], off
	s_waitcnt vmcnt(0)
	v_fmac_f16_e32 v5, v6, v9
	global_store_b16 v[7:8], v5, off
.LBB6_10:
	s_or_b32 exec_lo, exec_lo, s0
	v_or_b32_e32 v4, 3, v4
	s_delay_alu instid0(VALU_DEP_1)
	v_cmp_gt_u32_e32 vcc_lo, s12, v4
	s_and_b32 exec_lo, exec_lo, vcc_lo
	s_cbranch_execz .LBB6_13
; %bb.11:
	v_mad_u64_u32 v[5:6], null, v4, s6, 0
	s_delay_alu instid0(VALU_DEP_1) | instskip(NEXT) | instid1(VALU_DEP_1)
	v_mad_u64_u32 v[7:8], null, v4, s7, v[6:7]
	v_mov_b32_e32 v6, v7
	s_delay_alu instid0(VALU_DEP_1) | instskip(NEXT) | instid1(VALU_DEP_1)
	v_lshlrev_b64 v[5:6], 1, v[5:6]
	v_add_co_u32 v5, vcc_lo, s4, v5
	s_delay_alu instid0(VALU_DEP_2)
	v_add_co_ci_u32_e32 v6, vcc_lo, s5, v6, vcc_lo
	global_load_u16 v5, v[5:6], off
	s_waitcnt vmcnt(0)
	v_cmp_neq_f16_e32 vcc_lo, 0, v5
	s_and_b32 exec_lo, exec_lo, vcc_lo
	s_cbranch_execz .LBB6_13
; %bb.12:
	v_mad_u64_u32 v[6:7], null, v4, s2, 0
	v_mad_u64_u32 v[8:9], null, v4, s16, 0
	s_delay_alu instid0(VALU_DEP_1) | instskip(NEXT) | instid1(VALU_DEP_1)
	v_mad_u64_u32 v[10:11], null, v4, s3, v[7:8]
	v_mad_u64_u32 v[11:12], null, v4, s17, v[9:10]
	v_mov_b32_e32 v7, v10
	s_delay_alu instid0(VALU_DEP_1) | instskip(NEXT) | instid1(VALU_DEP_3)
	v_lshlrev_b64 v[6:7], 1, v[6:7]
	v_mov_b32_e32 v9, v11
	s_delay_alu instid0(VALU_DEP_2) | instskip(NEXT) | instid1(VALU_DEP_2)
	v_add_co_u32 v2, vcc_lo, v2, v6
	v_lshlrev_b64 v[8:9], 1, v[8:9]
	s_delay_alu instid0(VALU_DEP_4) | instskip(NEXT) | instid1(VALU_DEP_2)
	v_add_co_ci_u32_e32 v3, vcc_lo, v3, v7, vcc_lo
	v_add_co_u32 v0, vcc_lo, v0, v8
	s_delay_alu instid0(VALU_DEP_3)
	v_add_co_ci_u32_e32 v1, vcc_lo, v1, v9, vcc_lo
	global_load_u16 v4, v[2:3], off
	global_load_u16 v0, v[0:1], off
	s_waitcnt vmcnt(0)
	v_fmac_f16_e32 v4, v5, v0
	global_store_b16 v[2:3], v4, off
.LBB6_13:
	s_nop 0
	s_sendmsg sendmsg(MSG_DEALLOC_VGPRS)
	s_endpgm
	.section	.rodata,"a",@progbits
	.p2align	6, 0x0
	.amdhsa_kernel _ZL27rocblas_axpy_kernel_batchedIiLi128ELi8EDF16_PKDF16_S1_PDF16_EviT3_lT4_lT_lT5_lS5_li
		.amdhsa_group_segment_fixed_size 0
		.amdhsa_private_segment_fixed_size 0
		.amdhsa_kernarg_size 92
		.amdhsa_user_sgpr_count 14
		.amdhsa_user_sgpr_dispatch_ptr 0
		.amdhsa_user_sgpr_queue_ptr 0
		.amdhsa_user_sgpr_kernarg_segment_ptr 1
		.amdhsa_user_sgpr_dispatch_id 0
		.amdhsa_user_sgpr_private_segment_size 0
		.amdhsa_wavefront_size32 1
		.amdhsa_uses_dynamic_stack 0
		.amdhsa_enable_private_segment 0
		.amdhsa_system_sgpr_workgroup_id_x 1
		.amdhsa_system_sgpr_workgroup_id_y 0
		.amdhsa_system_sgpr_workgroup_id_z 1
		.amdhsa_system_sgpr_workgroup_info 0
		.amdhsa_system_vgpr_workitem_id 1
		.amdhsa_next_free_vgpr 14
		.amdhsa_next_free_sgpr 20
		.amdhsa_reserve_vcc 1
		.amdhsa_float_round_mode_32 0
		.amdhsa_float_round_mode_16_64 0
		.amdhsa_float_denorm_mode_32 3
		.amdhsa_float_denorm_mode_16_64 3
		.amdhsa_dx10_clamp 1
		.amdhsa_ieee_mode 1
		.amdhsa_fp16_overflow 0
		.amdhsa_workgroup_processor_mode 1
		.amdhsa_memory_ordered 1
		.amdhsa_forward_progress 0
		.amdhsa_shared_vgpr_count 0
		.amdhsa_exception_fp_ieee_invalid_op 0
		.amdhsa_exception_fp_denorm_src 0
		.amdhsa_exception_fp_ieee_div_zero 0
		.amdhsa_exception_fp_ieee_overflow 0
		.amdhsa_exception_fp_ieee_underflow 0
		.amdhsa_exception_fp_ieee_inexact 0
		.amdhsa_exception_int_div_zero 0
	.end_amdhsa_kernel
	.section	.text._ZL27rocblas_axpy_kernel_batchedIiLi128ELi8EDF16_PKDF16_S1_PDF16_EviT3_lT4_lT_lT5_lS5_li,"axG",@progbits,_ZL27rocblas_axpy_kernel_batchedIiLi128ELi8EDF16_PKDF16_S1_PDF16_EviT3_lT4_lT_lT5_lS5_li,comdat
.Lfunc_end6:
	.size	_ZL27rocblas_axpy_kernel_batchedIiLi128ELi8EDF16_PKDF16_S1_PDF16_EviT3_lT4_lT_lT5_lS5_li, .Lfunc_end6-_ZL27rocblas_axpy_kernel_batchedIiLi128ELi8EDF16_PKDF16_S1_PDF16_EviT3_lT4_lT_lT5_lS5_li
                                        ; -- End function
	.section	.AMDGPU.csdata,"",@progbits
; Kernel info:
; codeLenInByte = 1220
; NumSgprs: 22
; NumVgprs: 14
; ScratchSize: 0
; MemoryBound: 0
; FloatMode: 240
; IeeeMode: 1
; LDSByteSize: 0 bytes/workgroup (compile time only)
; SGPRBlocks: 2
; VGPRBlocks: 1
; NumSGPRsForWavesPerEU: 22
; NumVGPRsForWavesPerEU: 14
; Occupancy: 16
; WaveLimiterHint : 0
; COMPUTE_PGM_RSRC2:SCRATCH_EN: 0
; COMPUTE_PGM_RSRC2:USER_SGPR: 14
; COMPUTE_PGM_RSRC2:TRAP_HANDLER: 0
; COMPUTE_PGM_RSRC2:TGID_X_EN: 1
; COMPUTE_PGM_RSRC2:TGID_Y_EN: 0
; COMPUTE_PGM_RSRC2:TGID_Z_EN: 1
; COMPUTE_PGM_RSRC2:TIDIG_COMP_CNT: 1
	.section	.text._ZL27rocblas_axpy_kernel_batchedIiLi128ELi8EDF16_DF16_PKDF16_PDF16_EviT3_lT4_lT_lT5_lS5_li,"axG",@progbits,_ZL27rocblas_axpy_kernel_batchedIiLi128ELi8EDF16_DF16_PKDF16_PDF16_EviT3_lT4_lT_lT5_lS5_li,comdat
	.globl	_ZL27rocblas_axpy_kernel_batchedIiLi128ELi8EDF16_DF16_PKDF16_PDF16_EviT3_lT4_lT_lT5_lS5_li ; -- Begin function _ZL27rocblas_axpy_kernel_batchedIiLi128ELi8EDF16_DF16_PKDF16_PDF16_EviT3_lT4_lT_lT5_lS5_li
	.p2align	8
	.type	_ZL27rocblas_axpy_kernel_batchedIiLi128ELi8EDF16_DF16_PKDF16_PDF16_EviT3_lT4_lT_lT5_lS5_li,@function
_ZL27rocblas_axpy_kernel_batchedIiLi128ELi8EDF16_DF16_PKDF16_PDF16_EviT3_lT4_lT_lT5_lS5_li: ; @_ZL27rocblas_axpy_kernel_batchedIiLi128ELi8EDF16_DF16_PKDF16_PDF16_EviT3_lT4_lT_lT5_lS5_li
; %bb.0:
	s_load_b64 s[2:3], s[0:1], 0x0
	v_dual_mov_b32 v2, 0 :: v_dual_and_b32 v1, 0x3ff, v0
	s_delay_alu instid0(VALU_DEP_1)
	v_lshl_add_u32 v1, s14, 7, v1
	s_waitcnt lgkmcnt(0)
	s_ashr_i32 s5, s2, 31
	s_mov_b32 s4, s2
	s_mov_b32 s2, exec_lo
	v_cmpx_gt_i64_e64 s[4:5], v[1:2]
	s_cbranch_execz .LBB7_9
; %bb.1:
	s_clause 0x2
	s_load_b32 s12, s[0:1], 0x20
	s_load_b32 s13, s[0:1], 0x40
	s_load_b128 s[16:19], s[0:1], 0x10
	v_bfe_u32 v4, v0, 10, 10
	s_clause 0x3
	s_load_b64 s[8:9], s[0:1], 0x48
	s_load_b32 s2, s[0:1], 0x50
	s_load_b64 s[10:11], s[0:1], 0x38
	s_load_b128 s[4:7], s[0:1], 0x28
	v_cmp_neq_f16_e64 s1, s3, 0
	s_waitcnt lgkmcnt(0)
	v_mad_u64_u32 v[2:3], null, s12, v1, 0
	v_mad_u64_u32 v[5:6], null, s13, v1, 0
	s_ashr_i32 s0, s12, 31
	s_delay_alu instid0(VALU_DEP_1) | instskip(NEXT) | instid1(VALU_DEP_3)
	v_mov_b32_e32 v0, v6
	v_mad_u64_u32 v[6:7], null, s0, v1, v[3:4]
	v_lshlrev_b32_e32 v3, 2, v4
	s_ashr_i32 s0, s13, 31
	s_lshl_b64 s[12:13], s[18:19], 1
	v_mad_u64_u32 v[7:8], null, s0, v1, v[0:1]
	s_delay_alu instid0(VALU_DEP_2) | instskip(NEXT) | instid1(VALU_DEP_4)
	v_lshl_add_u32 v4, s15, 5, v3
	v_mov_b32_e32 v3, v6
	s_add_u32 s0, s12, s16
	s_addc_u32 s12, s13, s17
	s_lshl_b64 s[10:11], s[10:11], 1
	v_cmp_gt_u32_e32 vcc_lo, s2, v4
	s_delay_alu instid0(VALU_DEP_4) | instskip(SKIP_3) | instid1(VALU_DEP_2)
	v_mov_b32_e32 v6, v7
	v_lshlrev_b64 v[0:1], 1, v[2:3]
	s_add_u32 s6, s10, s6
	s_addc_u32 s7, s11, s7
	v_lshlrev_b64 v[2:3], 1, v[5:6]
	s_delay_alu instid0(VALU_DEP_2) | instskip(NEXT) | instid1(VALU_DEP_1)
	v_add_co_u32 v0, s0, s0, v0
	v_add_co_ci_u32_e64 v1, s0, s12, v1, s0
	s_delay_alu instid0(VALU_DEP_3) | instskip(NEXT) | instid1(VALU_DEP_1)
	v_add_co_u32 v2, s0, s6, v2
	v_add_co_ci_u32_e64 v3, s0, s7, v3, s0
	s_and_b32 s6, s1, vcc_lo
	s_delay_alu instid0(SALU_CYCLE_1)
	s_and_saveexec_b32 s0, s6
	s_cbranch_execz .LBB7_3
; %bb.2:
	v_mad_u64_u32 v[5:6], null, v4, s8, 0
	v_mad_u64_u32 v[7:8], null, v4, s4, 0
	s_delay_alu instid0(VALU_DEP_1) | instskip(NEXT) | instid1(VALU_DEP_1)
	v_mad_u64_u32 v[9:10], null, v4, s9, v[6:7]
	v_mad_u64_u32 v[10:11], null, v4, s5, v[8:9]
	v_mov_b32_e32 v6, v9
	s_delay_alu instid0(VALU_DEP_1) | instskip(NEXT) | instid1(VALU_DEP_3)
	v_lshlrev_b64 v[5:6], 1, v[5:6]
	v_mov_b32_e32 v8, v10
	s_delay_alu instid0(VALU_DEP_2) | instskip(NEXT) | instid1(VALU_DEP_2)
	v_add_co_u32 v5, vcc_lo, v2, v5
	v_lshlrev_b64 v[7:8], 1, v[7:8]
	s_delay_alu instid0(VALU_DEP_4) | instskip(NEXT) | instid1(VALU_DEP_2)
	v_add_co_ci_u32_e32 v6, vcc_lo, v3, v6, vcc_lo
	v_add_co_u32 v7, vcc_lo, v0, v7
	s_delay_alu instid0(VALU_DEP_3)
	v_add_co_ci_u32_e32 v8, vcc_lo, v1, v8, vcc_lo
	global_load_u16 v9, v[5:6], off
	global_load_u16 v7, v[7:8], off
	s_waitcnt vmcnt(0)
	v_fmac_f16_e32 v9, s3, v7
	global_store_b16 v[5:6], v9, off
.LBB7_3:
	s_or_b32 exec_lo, exec_lo, s0
	v_or_b32_e32 v5, 1, v4
	s_delay_alu instid0(VALU_DEP_1) | instskip(SKIP_1) | instid1(SALU_CYCLE_1)
	v_cmp_gt_u32_e32 vcc_lo, s2, v5
	s_and_b32 s6, s1, vcc_lo
	s_and_saveexec_b32 s0, s6
	s_cbranch_execz .LBB7_5
; %bb.4:
	v_mad_u64_u32 v[6:7], null, v5, s8, 0
	v_mad_u64_u32 v[8:9], null, v5, s4, 0
	s_delay_alu instid0(VALU_DEP_1) | instskip(NEXT) | instid1(VALU_DEP_1)
	v_mad_u64_u32 v[10:11], null, v5, s9, v[7:8]
	v_mad_u64_u32 v[11:12], null, v5, s5, v[9:10]
	v_mov_b32_e32 v7, v10
	s_delay_alu instid0(VALU_DEP_1) | instskip(NEXT) | instid1(VALU_DEP_3)
	v_lshlrev_b64 v[5:6], 1, v[6:7]
	v_mov_b32_e32 v9, v11
	s_delay_alu instid0(VALU_DEP_2) | instskip(NEXT) | instid1(VALU_DEP_2)
	v_add_co_u32 v5, vcc_lo, v2, v5
	v_lshlrev_b64 v[7:8], 1, v[8:9]
	s_delay_alu instid0(VALU_DEP_4) | instskip(NEXT) | instid1(VALU_DEP_2)
	v_add_co_ci_u32_e32 v6, vcc_lo, v3, v6, vcc_lo
	v_add_co_u32 v7, vcc_lo, v0, v7
	s_delay_alu instid0(VALU_DEP_3)
	v_add_co_ci_u32_e32 v8, vcc_lo, v1, v8, vcc_lo
	global_load_u16 v9, v[5:6], off
	global_load_u16 v7, v[7:8], off
	s_waitcnt vmcnt(0)
	v_fmac_f16_e32 v9, s3, v7
	global_store_b16 v[5:6], v9, off
.LBB7_5:
	s_or_b32 exec_lo, exec_lo, s0
	v_or_b32_e32 v5, 2, v4
	s_delay_alu instid0(VALU_DEP_1) | instskip(SKIP_1) | instid1(SALU_CYCLE_1)
	v_cmp_gt_u32_e32 vcc_lo, s2, v5
	s_and_b32 s6, s1, vcc_lo
	;; [unrolled: 31-line block ×3, first 2 shown]
	s_and_b32 exec_lo, exec_lo, s0
	s_cbranch_execz .LBB7_9
; %bb.8:
	v_mad_u64_u32 v[5:6], null, v4, s8, 0
	v_mad_u64_u32 v[7:8], null, v4, s4, 0
	s_delay_alu instid0(VALU_DEP_1) | instskip(NEXT) | instid1(VALU_DEP_1)
	v_mad_u64_u32 v[9:10], null, v4, s9, v[6:7]
	v_mad_u64_u32 v[10:11], null, v4, s5, v[8:9]
	v_mov_b32_e32 v6, v9
	s_delay_alu instid0(VALU_DEP_1) | instskip(NEXT) | instid1(VALU_DEP_3)
	v_lshlrev_b64 v[4:5], 1, v[5:6]
	v_mov_b32_e32 v8, v10
	s_delay_alu instid0(VALU_DEP_2) | instskip(NEXT) | instid1(VALU_DEP_2)
	v_add_co_u32 v2, vcc_lo, v2, v4
	v_lshlrev_b64 v[6:7], 1, v[7:8]
	s_delay_alu instid0(VALU_DEP_4) | instskip(NEXT) | instid1(VALU_DEP_2)
	v_add_co_ci_u32_e32 v3, vcc_lo, v3, v5, vcc_lo
	v_add_co_u32 v0, vcc_lo, v0, v6
	s_delay_alu instid0(VALU_DEP_3)
	v_add_co_ci_u32_e32 v1, vcc_lo, v1, v7, vcc_lo
	global_load_u16 v4, v[2:3], off
	global_load_u16 v0, v[0:1], off
	s_waitcnt vmcnt(0)
	v_fmac_f16_e32 v4, s3, v0
	global_store_b16 v[2:3], v4, off
.LBB7_9:
	s_nop 0
	s_sendmsg sendmsg(MSG_DEALLOC_VGPRS)
	s_endpgm
	.section	.rodata,"a",@progbits
	.p2align	6, 0x0
	.amdhsa_kernel _ZL27rocblas_axpy_kernel_batchedIiLi128ELi8EDF16_DF16_PKDF16_PDF16_EviT3_lT4_lT_lT5_lS5_li
		.amdhsa_group_segment_fixed_size 0
		.amdhsa_private_segment_fixed_size 0
		.amdhsa_kernarg_size 84
		.amdhsa_user_sgpr_count 14
		.amdhsa_user_sgpr_dispatch_ptr 0
		.amdhsa_user_sgpr_queue_ptr 0
		.amdhsa_user_sgpr_kernarg_segment_ptr 1
		.amdhsa_user_sgpr_dispatch_id 0
		.amdhsa_user_sgpr_private_segment_size 0
		.amdhsa_wavefront_size32 1
		.amdhsa_uses_dynamic_stack 0
		.amdhsa_enable_private_segment 0
		.amdhsa_system_sgpr_workgroup_id_x 1
		.amdhsa_system_sgpr_workgroup_id_y 0
		.amdhsa_system_sgpr_workgroup_id_z 1
		.amdhsa_system_sgpr_workgroup_info 0
		.amdhsa_system_vgpr_workitem_id 1
		.amdhsa_next_free_vgpr 13
		.amdhsa_next_free_sgpr 20
		.amdhsa_reserve_vcc 1
		.amdhsa_float_round_mode_32 0
		.amdhsa_float_round_mode_16_64 0
		.amdhsa_float_denorm_mode_32 3
		.amdhsa_float_denorm_mode_16_64 3
		.amdhsa_dx10_clamp 1
		.amdhsa_ieee_mode 1
		.amdhsa_fp16_overflow 0
		.amdhsa_workgroup_processor_mode 1
		.amdhsa_memory_ordered 1
		.amdhsa_forward_progress 0
		.amdhsa_shared_vgpr_count 0
		.amdhsa_exception_fp_ieee_invalid_op 0
		.amdhsa_exception_fp_denorm_src 0
		.amdhsa_exception_fp_ieee_div_zero 0
		.amdhsa_exception_fp_ieee_overflow 0
		.amdhsa_exception_fp_ieee_underflow 0
		.amdhsa_exception_fp_ieee_inexact 0
		.amdhsa_exception_int_div_zero 0
	.end_amdhsa_kernel
	.section	.text._ZL27rocblas_axpy_kernel_batchedIiLi128ELi8EDF16_DF16_PKDF16_PDF16_EviT3_lT4_lT_lT5_lS5_li,"axG",@progbits,_ZL27rocblas_axpy_kernel_batchedIiLi128ELi8EDF16_DF16_PKDF16_PDF16_EviT3_lT4_lT_lT5_lS5_li,comdat
.Lfunc_end7:
	.size	_ZL27rocblas_axpy_kernel_batchedIiLi128ELi8EDF16_DF16_PKDF16_PDF16_EviT3_lT4_lT_lT5_lS5_li, .Lfunc_end7-_ZL27rocblas_axpy_kernel_batchedIiLi128ELi8EDF16_DF16_PKDF16_PDF16_EviT3_lT4_lT_lT5_lS5_li
                                        ; -- End function
	.section	.AMDGPU.csdata,"",@progbits
; Kernel info:
; codeLenInByte = 944
; NumSgprs: 22
; NumVgprs: 13
; ScratchSize: 0
; MemoryBound: 0
; FloatMode: 240
; IeeeMode: 1
; LDSByteSize: 0 bytes/workgroup (compile time only)
; SGPRBlocks: 2
; VGPRBlocks: 1
; NumSGPRsForWavesPerEU: 22
; NumVGPRsForWavesPerEU: 13
; Occupancy: 16
; WaveLimiterHint : 0
; COMPUTE_PGM_RSRC2:SCRATCH_EN: 0
; COMPUTE_PGM_RSRC2:USER_SGPR: 14
; COMPUTE_PGM_RSRC2:TRAP_HANDLER: 0
; COMPUTE_PGM_RSRC2:TGID_X_EN: 1
; COMPUTE_PGM_RSRC2:TGID_Y_EN: 0
; COMPUTE_PGM_RSRC2:TGID_Z_EN: 1
; COMPUTE_PGM_RSRC2:TIDIG_COMP_CNT: 1
	.section	.text._ZL19rocblas_axpy_kernelIiLi256EDF16_PKDF16_S1_PDF16_EviT2_lT3_lT_lT4_lS5_li,"axG",@progbits,_ZL19rocblas_axpy_kernelIiLi256EDF16_PKDF16_S1_PDF16_EviT2_lT3_lT_lT4_lS5_li,comdat
	.globl	_ZL19rocblas_axpy_kernelIiLi256EDF16_PKDF16_S1_PDF16_EviT2_lT3_lT_lT4_lS5_li ; -- Begin function _ZL19rocblas_axpy_kernelIiLi256EDF16_PKDF16_S1_PDF16_EviT2_lT3_lT_lT4_lS5_li
	.p2align	8
	.type	_ZL19rocblas_axpy_kernelIiLi256EDF16_PKDF16_S1_PDF16_EviT2_lT3_lT_lT4_lS5_li,@function
_ZL19rocblas_axpy_kernelIiLi256EDF16_PKDF16_S1_PDF16_EviT2_lT3_lT_lT4_lS5_li: ; @_ZL19rocblas_axpy_kernelIiLi256EDF16_PKDF16_S1_PDF16_EviT2_lT3_lT_lT4_lS5_li
; %bb.0:
	s_clause 0x1
	s_load_b128 s[4:7], s[0:1], 0x8
	s_load_b32 s2, s[0:1], 0x0
	v_mov_b32_e32 v1, 0
	v_lshl_or_b32 v0, s14, 8, v0
	s_waitcnt lgkmcnt(0)
	s_mul_i32 s3, s15, s7
	s_mul_hi_u32 s7, s15, s6
	s_mul_i32 s6, s15, s6
	s_add_i32 s7, s7, s3
	s_ashr_i32 s3, s2, 31
	s_lshl_b64 s[6:7], s[6:7], 1
	v_cmp_gt_i64_e32 vcc_lo, s[2:3], v[0:1]
	s_add_u32 s4, s4, s6
	s_addc_u32 s5, s5, s7
	global_load_u16 v2, v1, s[4:5]
	s_waitcnt vmcnt(0)
	v_cmp_neq_f16_e64 s2, 0, v2
	s_delay_alu instid0(VALU_DEP_1) | instskip(NEXT) | instid1(SALU_CYCLE_1)
	s_and_b32 s2, vcc_lo, s2
	s_and_saveexec_b32 s3, s2
	s_cbranch_execz .LBB8_2
; %bb.1:
	s_clause 0x5
	s_load_b32 s12, s[0:1], 0x28
	s_load_b32 s13, s[0:1], 0x48
	s_load_b128 s[4:7], s[0:1], 0x30
	s_load_b64 s[2:3], s[0:1], 0x50
	s_load_b128 s[8:11], s[0:1], 0x18
	s_load_b64 s[0:1], s[0:1], 0x40
	s_waitcnt lgkmcnt(0)
	v_mad_u64_u32 v[3:4], null, s12, v0, 0
	v_mad_u64_u32 v[5:6], null, s13, v0, 0
	s_ashr_i32 s14, s12, 31
	s_ashr_i32 s16, s13, 31
	s_mul_i32 s5, s15, s5
	s_mul_hi_u32 s12, s15, s4
	s_mul_i32 s4, s15, s4
	s_add_i32 s5, s12, s5
	s_delay_alu instid0(VALU_DEP_1)
	v_mov_b32_e32 v1, v6
	s_lshl_b64 s[4:5], s[4:5], 1
	s_mul_i32 s3, s15, s3
	s_add_u32 s8, s8, s4
	s_addc_u32 s9, s9, s5
	v_mad_u64_u32 v[6:7], null, s16, v0, v[1:2]
	v_mad_u64_u32 v[7:8], null, s14, v0, v[4:5]
	s_lshl_b64 s[4:5], s[10:11], 1
	s_mul_hi_u32 s12, s15, s2
	s_add_u32 s4, s4, s8
	s_mul_i32 s2, s15, s2
	s_addc_u32 s5, s5, s9
	s_add_i32 s3, s12, s3
	s_delay_alu instid0(VALU_DEP_1)
	v_mov_b32_e32 v4, v7
	s_lshl_b64 s[2:3], s[2:3], 1
	v_lshlrev_b64 v[0:1], 1, v[5:6]
	s_add_u32 s2, s6, s2
	s_addc_u32 s3, s7, s3
	s_lshl_b64 s[0:1], s[0:1], 1
	v_lshlrev_b64 v[3:4], 1, v[3:4]
	s_add_u32 s0, s0, s2
	s_addc_u32 s1, s1, s3
	v_add_co_u32 v0, vcc_lo, s0, v0
	v_add_co_ci_u32_e32 v1, vcc_lo, s1, v1, vcc_lo
	s_delay_alu instid0(VALU_DEP_3)
	v_add_co_u32 v3, vcc_lo, s4, v3
	v_add_co_ci_u32_e32 v4, vcc_lo, s5, v4, vcc_lo
	global_load_u16 v5, v[0:1], off
	global_load_u16 v3, v[3:4], off
	s_waitcnt vmcnt(0)
	v_fmac_f16_e32 v5, v2, v3
	global_store_b16 v[0:1], v5, off
.LBB8_2:
	s_nop 0
	s_sendmsg sendmsg(MSG_DEALLOC_VGPRS)
	s_endpgm
	.section	.rodata,"a",@progbits
	.p2align	6, 0x0
	.amdhsa_kernel _ZL19rocblas_axpy_kernelIiLi256EDF16_PKDF16_S1_PDF16_EviT2_lT3_lT_lT4_lS5_li
		.amdhsa_group_segment_fixed_size 0
		.amdhsa_private_segment_fixed_size 0
		.amdhsa_kernarg_size 92
		.amdhsa_user_sgpr_count 14
		.amdhsa_user_sgpr_dispatch_ptr 0
		.amdhsa_user_sgpr_queue_ptr 0
		.amdhsa_user_sgpr_kernarg_segment_ptr 1
		.amdhsa_user_sgpr_dispatch_id 0
		.amdhsa_user_sgpr_private_segment_size 0
		.amdhsa_wavefront_size32 1
		.amdhsa_uses_dynamic_stack 0
		.amdhsa_enable_private_segment 0
		.amdhsa_system_sgpr_workgroup_id_x 1
		.amdhsa_system_sgpr_workgroup_id_y 0
		.amdhsa_system_sgpr_workgroup_id_z 1
		.amdhsa_system_sgpr_workgroup_info 0
		.amdhsa_system_vgpr_workitem_id 0
		.amdhsa_next_free_vgpr 9
		.amdhsa_next_free_sgpr 17
		.amdhsa_reserve_vcc 1
		.amdhsa_float_round_mode_32 0
		.amdhsa_float_round_mode_16_64 0
		.amdhsa_float_denorm_mode_32 3
		.amdhsa_float_denorm_mode_16_64 3
		.amdhsa_dx10_clamp 1
		.amdhsa_ieee_mode 1
		.amdhsa_fp16_overflow 0
		.amdhsa_workgroup_processor_mode 1
		.amdhsa_memory_ordered 1
		.amdhsa_forward_progress 0
		.amdhsa_shared_vgpr_count 0
		.amdhsa_exception_fp_ieee_invalid_op 0
		.amdhsa_exception_fp_denorm_src 0
		.amdhsa_exception_fp_ieee_div_zero 0
		.amdhsa_exception_fp_ieee_overflow 0
		.amdhsa_exception_fp_ieee_underflow 0
		.amdhsa_exception_fp_ieee_inexact 0
		.amdhsa_exception_int_div_zero 0
	.end_amdhsa_kernel
	.section	.text._ZL19rocblas_axpy_kernelIiLi256EDF16_PKDF16_S1_PDF16_EviT2_lT3_lT_lT4_lS5_li,"axG",@progbits,_ZL19rocblas_axpy_kernelIiLi256EDF16_PKDF16_S1_PDF16_EviT2_lT3_lT_lT4_lS5_li,comdat
.Lfunc_end8:
	.size	_ZL19rocblas_axpy_kernelIiLi256EDF16_PKDF16_S1_PDF16_EviT2_lT3_lT_lT4_lS5_li, .Lfunc_end8-_ZL19rocblas_axpy_kernelIiLi256EDF16_PKDF16_S1_PDF16_EviT2_lT3_lT_lT4_lS5_li
                                        ; -- End function
	.section	.AMDGPU.csdata,"",@progbits
; Kernel info:
; codeLenInByte = 388
; NumSgprs: 19
; NumVgprs: 9
; ScratchSize: 0
; MemoryBound: 0
; FloatMode: 240
; IeeeMode: 1
; LDSByteSize: 0 bytes/workgroup (compile time only)
; SGPRBlocks: 2
; VGPRBlocks: 1
; NumSGPRsForWavesPerEU: 19
; NumVGPRsForWavesPerEU: 9
; Occupancy: 16
; WaveLimiterHint : 0
; COMPUTE_PGM_RSRC2:SCRATCH_EN: 0
; COMPUTE_PGM_RSRC2:USER_SGPR: 14
; COMPUTE_PGM_RSRC2:TRAP_HANDLER: 0
; COMPUTE_PGM_RSRC2:TGID_X_EN: 1
; COMPUTE_PGM_RSRC2:TGID_Y_EN: 0
; COMPUTE_PGM_RSRC2:TGID_Z_EN: 1
; COMPUTE_PGM_RSRC2:TIDIG_COMP_CNT: 0
	.section	.text._ZL19rocblas_axpy_kernelIiLi256EDF16_DF16_PKDF16_PDF16_EviT2_lT3_lT_lT4_lS5_li,"axG",@progbits,_ZL19rocblas_axpy_kernelIiLi256EDF16_DF16_PKDF16_PDF16_EviT2_lT3_lT_lT4_lS5_li,comdat
	.globl	_ZL19rocblas_axpy_kernelIiLi256EDF16_DF16_PKDF16_PDF16_EviT2_lT3_lT_lT4_lS5_li ; -- Begin function _ZL19rocblas_axpy_kernelIiLi256EDF16_DF16_PKDF16_PDF16_EviT2_lT3_lT_lT4_lS5_li
	.p2align	8
	.type	_ZL19rocblas_axpy_kernelIiLi256EDF16_DF16_PKDF16_PDF16_EviT2_lT3_lT_lT4_lS5_li,@function
_ZL19rocblas_axpy_kernelIiLi256EDF16_DF16_PKDF16_PDF16_EviT2_lT3_lT_lT4_lS5_li: ; @_ZL19rocblas_axpy_kernelIiLi256EDF16_DF16_PKDF16_PDF16_EviT2_lT3_lT_lT4_lS5_li
; %bb.0:
	s_load_b64 s[2:3], s[0:1], 0x0
	v_mov_b32_e32 v1, 0
	v_lshl_or_b32 v0, s14, 8, v0
	s_waitcnt lgkmcnt(0)
	s_ashr_i32 s5, s2, 31
	s_mov_b32 s4, s2
	v_cmp_neq_f16_e64 s2, s3, 0
	v_cmp_gt_i64_e32 vcc_lo, s[4:5], v[0:1]
	s_delay_alu instid0(VALU_DEP_2) | instskip(NEXT) | instid1(SALU_CYCLE_1)
	s_and_b32 s2, s2, vcc_lo
	s_and_saveexec_b32 s4, s2
	s_cbranch_execz .LBB9_2
; %bb.1:
	s_clause 0x5
	s_load_b32 s2, s[0:1], 0x20
	s_load_b32 s14, s[0:1], 0x40
	s_load_b128 s[4:7], s[0:1], 0x28
	s_load_b64 s[12:13], s[0:1], 0x48
	s_load_b128 s[8:11], s[0:1], 0x10
	s_load_b64 s[0:1], s[0:1], 0x38
	s_waitcnt lgkmcnt(0)
	v_mad_u64_u32 v[1:2], null, s2, v0, 0
	v_mad_u64_u32 v[3:4], null, s14, v0, 0
	s_ashr_i32 s17, s14, 31
	s_ashr_i32 s16, s2, 31
	s_mul_i32 s2, s15, s5
	s_mul_hi_u32 s5, s15, s4
	s_mul_i32 s4, s15, s4
	s_add_i32 s5, s5, s2
	s_delay_alu instid0(VALU_DEP_1)
	v_mad_u64_u32 v[5:6], null, s17, v0, v[4:5]
	v_mad_u64_u32 v[6:7], null, s16, v0, v[2:3]
	s_lshl_b64 s[4:5], s[4:5], 1
	s_mul_i32 s13, s15, s13
	s_add_u32 s8, s8, s4
	s_addc_u32 s9, s9, s5
	s_lshl_b64 s[4:5], s[10:11], 1
	s_mul_hi_u32 s2, s15, s12
	v_mov_b32_e32 v4, v5
	s_add_u32 s8, s4, s8
	s_mul_i32 s12, s15, s12
	s_addc_u32 s9, s5, s9
	s_add_i32 s13, s2, s13
	v_mov_b32_e32 v2, v6
	s_lshl_b64 s[4:5], s[12:13], 1
	v_lshlrev_b64 v[3:4], 1, v[3:4]
	s_add_u32 s2, s6, s4
	s_addc_u32 s4, s7, s5
	s_lshl_b64 s[0:1], s[0:1], 1
	v_lshlrev_b64 v[0:1], 1, v[1:2]
	s_add_u32 s0, s0, s2
	s_addc_u32 s1, s1, s4
	v_add_co_u32 v2, vcc_lo, s0, v3
	v_add_co_ci_u32_e32 v3, vcc_lo, s1, v4, vcc_lo
	s_delay_alu instid0(VALU_DEP_3)
	v_add_co_u32 v0, vcc_lo, s8, v0
	v_add_co_ci_u32_e32 v1, vcc_lo, s9, v1, vcc_lo
	global_load_u16 v4, v[2:3], off
	global_load_u16 v0, v[0:1], off
	s_waitcnt vmcnt(0)
	v_fmac_f16_e32 v4, s3, v0
	global_store_b16 v[2:3], v4, off
.LBB9_2:
	s_nop 0
	s_sendmsg sendmsg(MSG_DEALLOC_VGPRS)
	s_endpgm
	.section	.rodata,"a",@progbits
	.p2align	6, 0x0
	.amdhsa_kernel _ZL19rocblas_axpy_kernelIiLi256EDF16_DF16_PKDF16_PDF16_EviT2_lT3_lT_lT4_lS5_li
		.amdhsa_group_segment_fixed_size 0
		.amdhsa_private_segment_fixed_size 0
		.amdhsa_kernarg_size 84
		.amdhsa_user_sgpr_count 14
		.amdhsa_user_sgpr_dispatch_ptr 0
		.amdhsa_user_sgpr_queue_ptr 0
		.amdhsa_user_sgpr_kernarg_segment_ptr 1
		.amdhsa_user_sgpr_dispatch_id 0
		.amdhsa_user_sgpr_private_segment_size 0
		.amdhsa_wavefront_size32 1
		.amdhsa_uses_dynamic_stack 0
		.amdhsa_enable_private_segment 0
		.amdhsa_system_sgpr_workgroup_id_x 1
		.amdhsa_system_sgpr_workgroup_id_y 0
		.amdhsa_system_sgpr_workgroup_id_z 1
		.amdhsa_system_sgpr_workgroup_info 0
		.amdhsa_system_vgpr_workitem_id 0
		.amdhsa_next_free_vgpr 8
		.amdhsa_next_free_sgpr 18
		.amdhsa_reserve_vcc 1
		.amdhsa_float_round_mode_32 0
		.amdhsa_float_round_mode_16_64 0
		.amdhsa_float_denorm_mode_32 3
		.amdhsa_float_denorm_mode_16_64 3
		.amdhsa_dx10_clamp 1
		.amdhsa_ieee_mode 1
		.amdhsa_fp16_overflow 0
		.amdhsa_workgroup_processor_mode 1
		.amdhsa_memory_ordered 1
		.amdhsa_forward_progress 0
		.amdhsa_shared_vgpr_count 0
		.amdhsa_exception_fp_ieee_invalid_op 0
		.amdhsa_exception_fp_denorm_src 0
		.amdhsa_exception_fp_ieee_div_zero 0
		.amdhsa_exception_fp_ieee_overflow 0
		.amdhsa_exception_fp_ieee_underflow 0
		.amdhsa_exception_fp_ieee_inexact 0
		.amdhsa_exception_int_div_zero 0
	.end_amdhsa_kernel
	.section	.text._ZL19rocblas_axpy_kernelIiLi256EDF16_DF16_PKDF16_PDF16_EviT2_lT3_lT_lT4_lS5_li,"axG",@progbits,_ZL19rocblas_axpy_kernelIiLi256EDF16_DF16_PKDF16_PDF16_EviT2_lT3_lT_lT4_lS5_li,comdat
.Lfunc_end9:
	.size	_ZL19rocblas_axpy_kernelIiLi256EDF16_DF16_PKDF16_PDF16_EviT2_lT3_lT_lT4_lS5_li, .Lfunc_end9-_ZL19rocblas_axpy_kernelIiLi256EDF16_DF16_PKDF16_PDF16_EviT2_lT3_lT_lT4_lS5_li
                                        ; -- End function
	.section	.AMDGPU.csdata,"",@progbits
; Kernel info:
; codeLenInByte = 336
; NumSgprs: 20
; NumVgprs: 8
; ScratchSize: 0
; MemoryBound: 0
; FloatMode: 240
; IeeeMode: 1
; LDSByteSize: 0 bytes/workgroup (compile time only)
; SGPRBlocks: 2
; VGPRBlocks: 0
; NumSGPRsForWavesPerEU: 20
; NumVGPRsForWavesPerEU: 8
; Occupancy: 16
; WaveLimiterHint : 0
; COMPUTE_PGM_RSRC2:SCRATCH_EN: 0
; COMPUTE_PGM_RSRC2:USER_SGPR: 14
; COMPUTE_PGM_RSRC2:TRAP_HANDLER: 0
; COMPUTE_PGM_RSRC2:TGID_X_EN: 1
; COMPUTE_PGM_RSRC2:TGID_Y_EN: 0
; COMPUTE_PGM_RSRC2:TGID_Z_EN: 1
; COMPUTE_PGM_RSRC2:TIDIG_COMP_CNT: 0
	.section	.text._ZL19rocblas_axpy_kernelIlLi256EDF16_PKDF16_S1_PDF16_EviT2_lT3_lT_lT4_lS5_li,"axG",@progbits,_ZL19rocblas_axpy_kernelIlLi256EDF16_PKDF16_S1_PDF16_EviT2_lT3_lT_lT4_lS5_li,comdat
	.globl	_ZL19rocblas_axpy_kernelIlLi256EDF16_PKDF16_S1_PDF16_EviT2_lT3_lT_lT4_lS5_li ; -- Begin function _ZL19rocblas_axpy_kernelIlLi256EDF16_PKDF16_S1_PDF16_EviT2_lT3_lT_lT4_lS5_li
	.p2align	8
	.type	_ZL19rocblas_axpy_kernelIlLi256EDF16_PKDF16_S1_PDF16_EviT2_lT3_lT_lT4_lS5_li,@function
_ZL19rocblas_axpy_kernelIlLi256EDF16_PKDF16_S1_PDF16_EviT2_lT3_lT_lT4_lS5_li: ; @_ZL19rocblas_axpy_kernelIlLi256EDF16_PKDF16_S1_PDF16_EviT2_lT3_lT_lT4_lS5_li
; %bb.0:
	s_clause 0x1
	s_load_b128 s[4:7], s[0:1], 0x8
	s_load_b32 s2, s[0:1], 0x0
	v_mov_b32_e32 v1, 0
	v_lshl_or_b32 v0, s14, 8, v0
	s_waitcnt lgkmcnt(0)
	s_mul_i32 s3, s15, s7
	s_mul_hi_u32 s7, s15, s6
	s_mul_i32 s6, s15, s6
	s_add_i32 s7, s7, s3
	s_ashr_i32 s3, s2, 31
	s_lshl_b64 s[6:7], s[6:7], 1
	v_cmp_gt_i64_e32 vcc_lo, s[2:3], v[0:1]
	s_add_u32 s4, s4, s6
	s_addc_u32 s5, s5, s7
	global_load_u16 v2, v1, s[4:5]
	s_waitcnt vmcnt(0)
	v_cmp_neq_f16_e64 s2, 0, v2
	s_delay_alu instid0(VALU_DEP_1) | instskip(NEXT) | instid1(SALU_CYCLE_1)
	s_and_b32 s2, vcc_lo, s2
	s_and_saveexec_b32 s3, s2
	s_cbranch_execz .LBB10_2
; %bb.1:
	s_clause 0x3
	s_load_b128 s[16:19], s[0:1], 0x20
	s_load_b256 s[4:11], s[0:1], 0x30
	s_load_b64 s[2:3], s[0:1], 0x50
	s_load_b64 s[0:1], s[0:1], 0x18
	s_waitcnt lgkmcnt(0)
	v_mad_u64_u32 v[3:4], null, v0, s18, 0
	v_mad_u64_u32 v[5:6], null, v0, s10, 0
	s_mul_i32 s5, s15, s5
	s_mul_hi_u32 s12, s15, s4
	s_mul_i32 s4, s15, s4
	s_add_i32 s5, s12, s5
	s_mul_i32 s3, s15, s3
	s_lshl_b64 s[4:5], s[4:5], 1
	s_delay_alu instid0(VALU_DEP_1)
	v_mov_b32_e32 v1, v6
	s_add_u32 s4, s0, s4
	s_addc_u32 s5, s1, s5
	s_lshl_b64 s[0:1], s[16:17], 1
	s_mul_hi_u32 s10, s15, s2
	v_mad_u64_u32 v[6:7], null, v0, s11, v[1:2]
	v_mad_u64_u32 v[7:8], null, v0, s19, v[4:5]
	s_add_u32 s4, s0, s4
	s_mul_i32 s2, s15, s2
	s_addc_u32 s5, s1, s5
	s_add_i32 s3, s10, s3
	s_delay_alu instid0(VALU_DEP_2) | instskip(SKIP_1) | instid1(VALU_DEP_2)
	v_lshlrev_b64 v[0:1], 1, v[5:6]
	s_lshl_b64 s[0:1], s[2:3], 1
	v_mov_b32_e32 v4, v7
	s_add_u32 s2, s6, s0
	s_addc_u32 s3, s7, s1
	s_lshl_b64 s[0:1], s[8:9], 1
	s_delay_alu instid0(VALU_DEP_1) | instskip(SKIP_4) | instid1(VALU_DEP_3)
	v_lshlrev_b64 v[3:4], 1, v[3:4]
	s_add_u32 s0, s0, s2
	s_addc_u32 s1, s1, s3
	v_add_co_u32 v0, vcc_lo, s0, v0
	v_add_co_ci_u32_e32 v1, vcc_lo, s1, v1, vcc_lo
	v_add_co_u32 v3, vcc_lo, s4, v3
	v_add_co_ci_u32_e32 v4, vcc_lo, s5, v4, vcc_lo
	global_load_u16 v5, v[0:1], off
	global_load_u16 v3, v[3:4], off
	s_waitcnt vmcnt(0)
	v_fmac_f16_e32 v5, v2, v3
	global_store_b16 v[0:1], v5, off
.LBB10_2:
	s_nop 0
	s_sendmsg sendmsg(MSG_DEALLOC_VGPRS)
	s_endpgm
	.section	.rodata,"a",@progbits
	.p2align	6, 0x0
	.amdhsa_kernel _ZL19rocblas_axpy_kernelIlLi256EDF16_PKDF16_S1_PDF16_EviT2_lT3_lT_lT4_lS5_li
		.amdhsa_group_segment_fixed_size 0
		.amdhsa_private_segment_fixed_size 0
		.amdhsa_kernarg_size 92
		.amdhsa_user_sgpr_count 14
		.amdhsa_user_sgpr_dispatch_ptr 0
		.amdhsa_user_sgpr_queue_ptr 0
		.amdhsa_user_sgpr_kernarg_segment_ptr 1
		.amdhsa_user_sgpr_dispatch_id 0
		.amdhsa_user_sgpr_private_segment_size 0
		.amdhsa_wavefront_size32 1
		.amdhsa_uses_dynamic_stack 0
		.amdhsa_enable_private_segment 0
		.amdhsa_system_sgpr_workgroup_id_x 1
		.amdhsa_system_sgpr_workgroup_id_y 0
		.amdhsa_system_sgpr_workgroup_id_z 1
		.amdhsa_system_sgpr_workgroup_info 0
		.amdhsa_system_vgpr_workitem_id 0
		.amdhsa_next_free_vgpr 9
		.amdhsa_next_free_sgpr 20
		.amdhsa_reserve_vcc 1
		.amdhsa_float_round_mode_32 0
		.amdhsa_float_round_mode_16_64 0
		.amdhsa_float_denorm_mode_32 3
		.amdhsa_float_denorm_mode_16_64 3
		.amdhsa_dx10_clamp 1
		.amdhsa_ieee_mode 1
		.amdhsa_fp16_overflow 0
		.amdhsa_workgroup_processor_mode 1
		.amdhsa_memory_ordered 1
		.amdhsa_forward_progress 0
		.amdhsa_shared_vgpr_count 0
		.amdhsa_exception_fp_ieee_invalid_op 0
		.amdhsa_exception_fp_denorm_src 0
		.amdhsa_exception_fp_ieee_div_zero 0
		.amdhsa_exception_fp_ieee_overflow 0
		.amdhsa_exception_fp_ieee_underflow 0
		.amdhsa_exception_fp_ieee_inexact 0
		.amdhsa_exception_int_div_zero 0
	.end_amdhsa_kernel
	.section	.text._ZL19rocblas_axpy_kernelIlLi256EDF16_PKDF16_S1_PDF16_EviT2_lT3_lT_lT4_lS5_li,"axG",@progbits,_ZL19rocblas_axpy_kernelIlLi256EDF16_PKDF16_S1_PDF16_EviT2_lT3_lT_lT4_lS5_li,comdat
.Lfunc_end10:
	.size	_ZL19rocblas_axpy_kernelIlLi256EDF16_PKDF16_S1_PDF16_EviT2_lT3_lT_lT4_lS5_li, .Lfunc_end10-_ZL19rocblas_axpy_kernelIlLi256EDF16_PKDF16_S1_PDF16_EviT2_lT3_lT_lT4_lS5_li
                                        ; -- End function
	.section	.AMDGPU.csdata,"",@progbits
; Kernel info:
; codeLenInByte = 364
; NumSgprs: 22
; NumVgprs: 9
; ScratchSize: 0
; MemoryBound: 0
; FloatMode: 240
; IeeeMode: 1
; LDSByteSize: 0 bytes/workgroup (compile time only)
; SGPRBlocks: 2
; VGPRBlocks: 1
; NumSGPRsForWavesPerEU: 22
; NumVGPRsForWavesPerEU: 9
; Occupancy: 16
; WaveLimiterHint : 0
; COMPUTE_PGM_RSRC2:SCRATCH_EN: 0
; COMPUTE_PGM_RSRC2:USER_SGPR: 14
; COMPUTE_PGM_RSRC2:TRAP_HANDLER: 0
; COMPUTE_PGM_RSRC2:TGID_X_EN: 1
; COMPUTE_PGM_RSRC2:TGID_Y_EN: 0
; COMPUTE_PGM_RSRC2:TGID_Z_EN: 1
; COMPUTE_PGM_RSRC2:TIDIG_COMP_CNT: 0
	.section	.text._ZL19rocblas_axpy_kernelIlLi256EDF16_DF16_PKDF16_PDF16_EviT2_lT3_lT_lT4_lS5_li,"axG",@progbits,_ZL19rocblas_axpy_kernelIlLi256EDF16_DF16_PKDF16_PDF16_EviT2_lT3_lT_lT4_lS5_li,comdat
	.globl	_ZL19rocblas_axpy_kernelIlLi256EDF16_DF16_PKDF16_PDF16_EviT2_lT3_lT_lT4_lS5_li ; -- Begin function _ZL19rocblas_axpy_kernelIlLi256EDF16_DF16_PKDF16_PDF16_EviT2_lT3_lT_lT4_lS5_li
	.p2align	8
	.type	_ZL19rocblas_axpy_kernelIlLi256EDF16_DF16_PKDF16_PDF16_EviT2_lT3_lT_lT4_lS5_li,@function
_ZL19rocblas_axpy_kernelIlLi256EDF16_DF16_PKDF16_PDF16_EviT2_lT3_lT_lT4_lS5_li: ; @_ZL19rocblas_axpy_kernelIlLi256EDF16_DF16_PKDF16_PDF16_EviT2_lT3_lT_lT4_lS5_li
; %bb.0:
	s_load_b64 s[2:3], s[0:1], 0x0
	v_mov_b32_e32 v1, 0
	v_lshl_or_b32 v0, s14, 8, v0
	s_waitcnt lgkmcnt(0)
	s_ashr_i32 s5, s2, 31
	s_mov_b32 s4, s2
	v_cmp_neq_f16_e64 s2, s3, 0
	v_cmp_gt_i64_e32 vcc_lo, s[4:5], v[0:1]
	s_delay_alu instid0(VALU_DEP_2) | instskip(NEXT) | instid1(SALU_CYCLE_1)
	s_and_b32 s2, s2, vcc_lo
	s_and_saveexec_b32 s4, s2
	s_cbranch_execz .LBB11_2
; %bb.1:
	s_clause 0x3
	s_load_b128 s[16:19], s[0:1], 0x18
	s_load_b256 s[4:11], s[0:1], 0x28
	s_load_b64 s[12:13], s[0:1], 0x48
	s_load_b64 s[0:1], s[0:1], 0x10
	s_waitcnt lgkmcnt(0)
	v_mad_u64_u32 v[1:2], null, v0, s18, 0
	v_mad_u64_u32 v[3:4], null, v0, s10, 0
	s_mul_i32 s2, s15, s5
	s_mul_hi_u32 s5, s15, s4
	s_mul_i32 s4, s15, s4
	s_add_i32 s5, s5, s2
	s_mul_i32 s13, s15, s13
	s_lshl_b64 s[4:5], s[4:5], 1
	s_delay_alu instid0(VALU_DEP_1)
	v_mad_u64_u32 v[5:6], null, v0, s11, v[4:5]
	v_mad_u64_u32 v[6:7], null, v0, s19, v[2:3]
	s_add_u32 s4, s0, s4
	s_addc_u32 s5, s1, s5
	s_lshl_b64 s[0:1], s[16:17], 1
	s_mul_hi_u32 s2, s15, s12
	s_delay_alu instid0(VALU_DEP_2)
	v_mov_b32_e32 v4, v5
	s_add_u32 s4, s0, s4
	s_mul_i32 s10, s15, s12
	s_addc_u32 s5, s1, s5
	s_add_i32 s11, s2, s13
	v_mov_b32_e32 v2, v6
	s_lshl_b64 s[0:1], s[10:11], 1
	v_lshlrev_b64 v[3:4], 1, v[3:4]
	s_add_u32 s2, s6, s0
	s_addc_u32 s6, s7, s1
	s_lshl_b64 s[0:1], s[8:9], 1
	v_lshlrev_b64 v[0:1], 1, v[1:2]
	s_add_u32 s0, s0, s2
	s_addc_u32 s1, s1, s6
	v_add_co_u32 v2, vcc_lo, s0, v3
	v_add_co_ci_u32_e32 v3, vcc_lo, s1, v4, vcc_lo
	s_delay_alu instid0(VALU_DEP_3)
	v_add_co_u32 v0, vcc_lo, s4, v0
	v_add_co_ci_u32_e32 v1, vcc_lo, s5, v1, vcc_lo
	global_load_u16 v4, v[2:3], off
	global_load_u16 v0, v[0:1], off
	s_waitcnt vmcnt(0)
	v_fmac_f16_e32 v4, s3, v0
	global_store_b16 v[2:3], v4, off
.LBB11_2:
	s_nop 0
	s_sendmsg sendmsg(MSG_DEALLOC_VGPRS)
	s_endpgm
	.section	.rodata,"a",@progbits
	.p2align	6, 0x0
	.amdhsa_kernel _ZL19rocblas_axpy_kernelIlLi256EDF16_DF16_PKDF16_PDF16_EviT2_lT3_lT_lT4_lS5_li
		.amdhsa_group_segment_fixed_size 0
		.amdhsa_private_segment_fixed_size 0
		.amdhsa_kernarg_size 84
		.amdhsa_user_sgpr_count 14
		.amdhsa_user_sgpr_dispatch_ptr 0
		.amdhsa_user_sgpr_queue_ptr 0
		.amdhsa_user_sgpr_kernarg_segment_ptr 1
		.amdhsa_user_sgpr_dispatch_id 0
		.amdhsa_user_sgpr_private_segment_size 0
		.amdhsa_wavefront_size32 1
		.amdhsa_uses_dynamic_stack 0
		.amdhsa_enable_private_segment 0
		.amdhsa_system_sgpr_workgroup_id_x 1
		.amdhsa_system_sgpr_workgroup_id_y 0
		.amdhsa_system_sgpr_workgroup_id_z 1
		.amdhsa_system_sgpr_workgroup_info 0
		.amdhsa_system_vgpr_workitem_id 0
		.amdhsa_next_free_vgpr 8
		.amdhsa_next_free_sgpr 20
		.amdhsa_reserve_vcc 1
		.amdhsa_float_round_mode_32 0
		.amdhsa_float_round_mode_16_64 0
		.amdhsa_float_denorm_mode_32 3
		.amdhsa_float_denorm_mode_16_64 3
		.amdhsa_dx10_clamp 1
		.amdhsa_ieee_mode 1
		.amdhsa_fp16_overflow 0
		.amdhsa_workgroup_processor_mode 1
		.amdhsa_memory_ordered 1
		.amdhsa_forward_progress 0
		.amdhsa_shared_vgpr_count 0
		.amdhsa_exception_fp_ieee_invalid_op 0
		.amdhsa_exception_fp_denorm_src 0
		.amdhsa_exception_fp_ieee_div_zero 0
		.amdhsa_exception_fp_ieee_overflow 0
		.amdhsa_exception_fp_ieee_underflow 0
		.amdhsa_exception_fp_ieee_inexact 0
		.amdhsa_exception_int_div_zero 0
	.end_amdhsa_kernel
	.section	.text._ZL19rocblas_axpy_kernelIlLi256EDF16_DF16_PKDF16_PDF16_EviT2_lT3_lT_lT4_lS5_li,"axG",@progbits,_ZL19rocblas_axpy_kernelIlLi256EDF16_DF16_PKDF16_PDF16_EviT2_lT3_lT_lT4_lS5_li,comdat
.Lfunc_end11:
	.size	_ZL19rocblas_axpy_kernelIlLi256EDF16_DF16_PKDF16_PDF16_EviT2_lT3_lT_lT4_lS5_li, .Lfunc_end11-_ZL19rocblas_axpy_kernelIlLi256EDF16_DF16_PKDF16_PDF16_EviT2_lT3_lT_lT4_lS5_li
                                        ; -- End function
	.section	.AMDGPU.csdata,"",@progbits
; Kernel info:
; codeLenInByte = 316
; NumSgprs: 22
; NumVgprs: 8
; ScratchSize: 0
; MemoryBound: 0
; FloatMode: 240
; IeeeMode: 1
; LDSByteSize: 0 bytes/workgroup (compile time only)
; SGPRBlocks: 2
; VGPRBlocks: 0
; NumSGPRsForWavesPerEU: 22
; NumVGPRsForWavesPerEU: 8
; Occupancy: 16
; WaveLimiterHint : 0
; COMPUTE_PGM_RSRC2:SCRATCH_EN: 0
; COMPUTE_PGM_RSRC2:USER_SGPR: 14
; COMPUTE_PGM_RSRC2:TRAP_HANDLER: 0
; COMPUTE_PGM_RSRC2:TGID_X_EN: 1
; COMPUTE_PGM_RSRC2:TGID_Y_EN: 0
; COMPUTE_PGM_RSRC2:TGID_Z_EN: 1
; COMPUTE_PGM_RSRC2:TIDIG_COMP_CNT: 0
	.section	.text._ZL26rocblas_haxpy_mlt_8_kernelILi256EPKDF16_PKfPfEviT0_lT1_llT2_lli,"axG",@progbits,_ZL26rocblas_haxpy_mlt_8_kernelILi256EPKDF16_PKfPfEviT0_lT1_llT2_lli,comdat
	.globl	_ZL26rocblas_haxpy_mlt_8_kernelILi256EPKDF16_PKfPfEviT0_lT1_llT2_lli ; -- Begin function _ZL26rocblas_haxpy_mlt_8_kernelILi256EPKDF16_PKfPfEviT0_lT1_llT2_lli
	.p2align	8
	.type	_ZL26rocblas_haxpy_mlt_8_kernelILi256EPKDF16_PKfPfEviT0_lT1_llT2_lli,@function
_ZL26rocblas_haxpy_mlt_8_kernelILi256EPKDF16_PKfPfEviT0_lT1_llT2_lli: ; @_ZL26rocblas_haxpy_mlt_8_kernelILi256EPKDF16_PKfPfEviT0_lT1_llT2_lli
; %bb.0:
	s_load_b512 s[16:31], s[0:1], 0x8
	v_mov_b32_e32 v1, 0
	s_waitcnt lgkmcnt(0)
	s_mul_i32 s3, s15, s19
	s_mul_hi_u32 s4, s15, s18
	s_mul_i32 s2, s15, s18
	s_add_i32 s3, s4, s3
	s_delay_alu instid0(SALU_CYCLE_1) | instskip(NEXT) | instid1(SALU_CYCLE_1)
	s_lshl_b64 s[2:3], s[2:3], 1
	s_add_u32 s2, s16, s2
	s_addc_u32 s3, s17, s3
	global_load_u16 v2, v1, s[2:3]
	s_waitcnt vmcnt(0)
	v_and_b32_e32 v3, 0xffff, v2
	s_delay_alu instid0(VALU_DEP_1) | instskip(NEXT) | instid1(VALU_DEP_1)
	v_lshl_or_b32 v3, v2, 16, v3
	v_and_b32_e32 v3, 0x7fff, v3
	s_delay_alu instid0(VALU_DEP_1)
	v_cmp_eq_u32_e32 vcc_lo, 0, v3
	s_cbranch_vccnz .LBB12_3
; %bb.1:
	s_load_b32 s0, s[0:1], 0x0
	v_lshl_or_b32 v0, s14, 8, v0
	s_delay_alu instid0(VALU_DEP_1)
	v_lshlrev_b64 v[0:1], 3, v[0:1]
	s_waitcnt lgkmcnt(0)
	s_ashr_i32 s1, s0, 31
	s_delay_alu instid0(VALU_DEP_1) | instid1(SALU_CYCLE_1)
	v_cmp_gt_i64_e32 vcc_lo, s[0:1], v[0:1]
	s_and_saveexec_b32 s0, vcc_lo
	s_cbranch_execz .LBB12_3
; %bb.2:
	s_mul_i32 s1, s15, s25
	s_mul_hi_u32 s2, s15, s24
	s_mul_i32 s0, s15, s24
	s_add_i32 s1, s2, s1
	s_mul_i32 s4, s15, s31
	s_lshl_b64 s[0:1], s[0:1], 2
	v_lshlrev_b64 v[0:1], 2, v[0:1]
	s_add_u32 s2, s20, s0
	s_addc_u32 s3, s21, s1
	s_lshl_b64 s[0:1], s[22:23], 2
	s_delay_alu instid0(SALU_CYCLE_1)
	s_add_u32 s2, s0, s2
	s_mul_hi_u32 s0, s15, s30
	s_addc_u32 s3, s1, s3
	s_add_i32 s1, s0, s4
	s_mul_i32 s0, s15, s30
	v_add_co_u32 v3, vcc_lo, s2, v0
	s_lshl_b64 s[0:1], s[0:1], 2
	v_add_co_ci_u32_e32 v4, vcc_lo, s3, v1, vcc_lo
	s_add_u32 s4, s26, s0
	s_addc_u32 s5, s27, s1
	s_lshl_b64 s[0:1], s[28:29], 2
	s_delay_alu instid0(SALU_CYCLE_1)
	s_add_u32 s0, s0, s4
	s_addc_u32 s1, s1, s5
	v_add_co_u32 v0, vcc_lo, s0, v0
	v_add_co_ci_u32_e32 v1, vcc_lo, s1, v1, vcc_lo
	global_load_b128 v[3:6], v[3:4], off
	global_load_b128 v[7:10], v[0:1], off
	s_waitcnt vmcnt(0)
	v_pk_fma_f16 v6, v2, v6, v10 op_sel_hi:[0,1,1]
	v_pk_fma_f16 v5, v2, v5, v9 op_sel_hi:[0,1,1]
	;; [unrolled: 1-line block ×4, first 2 shown]
	global_store_b128 v[0:1], v[3:6], off
.LBB12_3:
	s_nop 0
	s_sendmsg sendmsg(MSG_DEALLOC_VGPRS)
	s_endpgm
	.section	.rodata,"a",@progbits
	.p2align	6, 0x0
	.amdhsa_kernel _ZL26rocblas_haxpy_mlt_8_kernelILi256EPKDF16_PKfPfEviT0_lT1_llT2_lli
		.amdhsa_group_segment_fixed_size 0
		.amdhsa_private_segment_fixed_size 0
		.amdhsa_kernarg_size 76
		.amdhsa_user_sgpr_count 14
		.amdhsa_user_sgpr_dispatch_ptr 0
		.amdhsa_user_sgpr_queue_ptr 0
		.amdhsa_user_sgpr_kernarg_segment_ptr 1
		.amdhsa_user_sgpr_dispatch_id 0
		.amdhsa_user_sgpr_private_segment_size 0
		.amdhsa_wavefront_size32 1
		.amdhsa_uses_dynamic_stack 0
		.amdhsa_enable_private_segment 0
		.amdhsa_system_sgpr_workgroup_id_x 1
		.amdhsa_system_sgpr_workgroup_id_y 0
		.amdhsa_system_sgpr_workgroup_id_z 1
		.amdhsa_system_sgpr_workgroup_info 0
		.amdhsa_system_vgpr_workitem_id 0
		.amdhsa_next_free_vgpr 11
		.amdhsa_next_free_sgpr 32
		.amdhsa_reserve_vcc 1
		.amdhsa_float_round_mode_32 0
		.amdhsa_float_round_mode_16_64 0
		.amdhsa_float_denorm_mode_32 3
		.amdhsa_float_denorm_mode_16_64 3
		.amdhsa_dx10_clamp 1
		.amdhsa_ieee_mode 1
		.amdhsa_fp16_overflow 0
		.amdhsa_workgroup_processor_mode 1
		.amdhsa_memory_ordered 1
		.amdhsa_forward_progress 0
		.amdhsa_shared_vgpr_count 0
		.amdhsa_exception_fp_ieee_invalid_op 0
		.amdhsa_exception_fp_denorm_src 0
		.amdhsa_exception_fp_ieee_div_zero 0
		.amdhsa_exception_fp_ieee_overflow 0
		.amdhsa_exception_fp_ieee_underflow 0
		.amdhsa_exception_fp_ieee_inexact 0
		.amdhsa_exception_int_div_zero 0
	.end_amdhsa_kernel
	.section	.text._ZL26rocblas_haxpy_mlt_8_kernelILi256EPKDF16_PKfPfEviT0_lT1_llT2_lli,"axG",@progbits,_ZL26rocblas_haxpy_mlt_8_kernelILi256EPKDF16_PKfPfEviT0_lT1_llT2_lli,comdat
.Lfunc_end12:
	.size	_ZL26rocblas_haxpy_mlt_8_kernelILi256EPKDF16_PKfPfEviT0_lT1_llT2_lli, .Lfunc_end12-_ZL26rocblas_haxpy_mlt_8_kernelILi256EPKDF16_PKfPfEviT0_lT1_llT2_lli
                                        ; -- End function
	.section	.AMDGPU.csdata,"",@progbits
; Kernel info:
; codeLenInByte = 344
; NumSgprs: 34
; NumVgprs: 11
; ScratchSize: 0
; MemoryBound: 0
; FloatMode: 240
; IeeeMode: 1
; LDSByteSize: 0 bytes/workgroup (compile time only)
; SGPRBlocks: 4
; VGPRBlocks: 1
; NumSGPRsForWavesPerEU: 34
; NumVGPRsForWavesPerEU: 11
; Occupancy: 16
; WaveLimiterHint : 0
; COMPUTE_PGM_RSRC2:SCRATCH_EN: 0
; COMPUTE_PGM_RSRC2:USER_SGPR: 14
; COMPUTE_PGM_RSRC2:TRAP_HANDLER: 0
; COMPUTE_PGM_RSRC2:TGID_X_EN: 1
; COMPUTE_PGM_RSRC2:TGID_Y_EN: 0
; COMPUTE_PGM_RSRC2:TGID_Z_EN: 1
; COMPUTE_PGM_RSRC2:TIDIG_COMP_CNT: 0
	.section	.text._ZL26rocblas_haxpy_mod_8_kernelILi256EPKfS1_PfEviT0_lT1_llT2_lli,"axG",@progbits,_ZL26rocblas_haxpy_mod_8_kernelILi256EPKfS1_PfEviT0_lT1_llT2_lli,comdat
	.globl	_ZL26rocblas_haxpy_mod_8_kernelILi256EPKfS1_PfEviT0_lT1_llT2_lli ; -- Begin function _ZL26rocblas_haxpy_mod_8_kernelILi256EPKfS1_PfEviT0_lT1_llT2_lli
	.p2align	8
	.type	_ZL26rocblas_haxpy_mod_8_kernelILi256EPKfS1_PfEviT0_lT1_llT2_lli,@function
_ZL26rocblas_haxpy_mod_8_kernelILi256EPKfS1_PfEviT0_lT1_llT2_lli: ; @_ZL26rocblas_haxpy_mod_8_kernelILi256EPKfS1_PfEviT0_lT1_llT2_lli
; %bb.0:
	s_clause 0x1
	s_load_b512 s[16:31], s[0:1], 0x8
	s_load_b32 s2, s[0:1], 0x0
	v_lshl_or_b32 v0, s14, 8, v0
	v_mov_b32_e32 v1, 0
	s_waitcnt lgkmcnt(0)
	s_mul_i32 s0, s15, s19
	s_mul_hi_u32 s1, s15, s18
	s_ashr_i32 s3, s2, 31
	s_add_i32 s1, s1, s0
	s_mul_i32 s0, s15, s18
	v_cmp_gt_i64_e32 vcc_lo, s[2:3], v[0:1]
	s_lshl_b64 s[0:1], s[0:1], 2
	s_delay_alu instid0(SALU_CYCLE_1) | instskip(SKIP_4) | instid1(VALU_DEP_1)
	s_add_u32 s0, s16, s0
	s_addc_u32 s1, s17, s1
	s_load_b32 s0, s[0:1], 0x0
	s_waitcnt lgkmcnt(0)
	v_cmp_neq_f32_e64 s1, s0, 0
	s_and_b32 s1, vcc_lo, s1
	s_delay_alu instid0(SALU_CYCLE_1)
	s_and_saveexec_b32 s2, s1
	s_cbranch_execz .LBB13_2
; %bb.1:
	s_mul_i32 s1, s15, s25
	s_mul_hi_u32 s3, s15, s24
	s_mul_i32 s2, s15, s24
	s_add_i32 s3, s3, s1
	s_mul_i32 s5, s15, s31
	s_lshl_b64 s[2:3], s[2:3], 2
	v_lshlrev_b64 v[0:1], 2, v[0:1]
	s_add_u32 s1, s20, s2
	s_addc_u32 s4, s21, s3
	s_lshl_b64 s[2:3], s[22:23], 2
	s_delay_alu instid0(SALU_CYCLE_1)
	s_add_u32 s1, s2, s1
	s_mul_hi_u32 s2, s15, s30
	s_addc_u32 s4, s3, s4
	s_add_i32 s3, s2, s5
	s_mul_i32 s2, s15, s30
	v_add_co_u32 v2, vcc_lo, s1, v0
	s_lshl_b64 s[2:3], s[2:3], 2
	v_add_co_ci_u32_e32 v3, vcc_lo, s4, v1, vcc_lo
	s_add_u32 s5, s26, s2
	s_addc_u32 s6, s27, s3
	s_lshl_b64 s[2:3], s[28:29], 2
	s_delay_alu instid0(SALU_CYCLE_1)
	s_add_u32 s1, s2, s5
	s_addc_u32 s2, s3, s6
	v_add_co_u32 v0, vcc_lo, s1, v0
	v_add_co_ci_u32_e32 v1, vcc_lo, s2, v1, vcc_lo
	global_load_b32 v2, v[2:3], off
	global_load_b32 v3, v[0:1], off
	s_waitcnt vmcnt(0)
	v_fmac_f32_e32 v3, s0, v2
	global_store_b32 v[0:1], v3, off
.LBB13_2:
	s_nop 0
	s_sendmsg sendmsg(MSG_DEALLOC_VGPRS)
	s_endpgm
	.section	.rodata,"a",@progbits
	.p2align	6, 0x0
	.amdhsa_kernel _ZL26rocblas_haxpy_mod_8_kernelILi256EPKfS1_PfEviT0_lT1_llT2_lli
		.amdhsa_group_segment_fixed_size 0
		.amdhsa_private_segment_fixed_size 0
		.amdhsa_kernarg_size 76
		.amdhsa_user_sgpr_count 14
		.amdhsa_user_sgpr_dispatch_ptr 0
		.amdhsa_user_sgpr_queue_ptr 0
		.amdhsa_user_sgpr_kernarg_segment_ptr 1
		.amdhsa_user_sgpr_dispatch_id 0
		.amdhsa_user_sgpr_private_segment_size 0
		.amdhsa_wavefront_size32 1
		.amdhsa_uses_dynamic_stack 0
		.amdhsa_enable_private_segment 0
		.amdhsa_system_sgpr_workgroup_id_x 1
		.amdhsa_system_sgpr_workgroup_id_y 0
		.amdhsa_system_sgpr_workgroup_id_z 1
		.amdhsa_system_sgpr_workgroup_info 0
		.amdhsa_system_vgpr_workitem_id 0
		.amdhsa_next_free_vgpr 4
		.amdhsa_next_free_sgpr 32
		.amdhsa_reserve_vcc 1
		.amdhsa_float_round_mode_32 0
		.amdhsa_float_round_mode_16_64 0
		.amdhsa_float_denorm_mode_32 3
		.amdhsa_float_denorm_mode_16_64 3
		.amdhsa_dx10_clamp 1
		.amdhsa_ieee_mode 1
		.amdhsa_fp16_overflow 0
		.amdhsa_workgroup_processor_mode 1
		.amdhsa_memory_ordered 1
		.amdhsa_forward_progress 0
		.amdhsa_shared_vgpr_count 0
		.amdhsa_exception_fp_ieee_invalid_op 0
		.amdhsa_exception_fp_denorm_src 0
		.amdhsa_exception_fp_ieee_div_zero 0
		.amdhsa_exception_fp_ieee_overflow 0
		.amdhsa_exception_fp_ieee_underflow 0
		.amdhsa_exception_fp_ieee_inexact 0
		.amdhsa_exception_int_div_zero 0
	.end_amdhsa_kernel
	.section	.text._ZL26rocblas_haxpy_mod_8_kernelILi256EPKfS1_PfEviT0_lT1_llT2_lli,"axG",@progbits,_ZL26rocblas_haxpy_mod_8_kernelILi256EPKfS1_PfEviT0_lT1_llT2_lli,comdat
.Lfunc_end13:
	.size	_ZL26rocblas_haxpy_mod_8_kernelILi256EPKfS1_PfEviT0_lT1_llT2_lli, .Lfunc_end13-_ZL26rocblas_haxpy_mod_8_kernelILi256EPKfS1_PfEviT0_lT1_llT2_lli
                                        ; -- End function
	.section	.AMDGPU.csdata,"",@progbits
; Kernel info:
; codeLenInByte = 276
; NumSgprs: 34
; NumVgprs: 4
; ScratchSize: 0
; MemoryBound: 0
; FloatMode: 240
; IeeeMode: 1
; LDSByteSize: 0 bytes/workgroup (compile time only)
; SGPRBlocks: 4
; VGPRBlocks: 0
; NumSGPRsForWavesPerEU: 34
; NumVGPRsForWavesPerEU: 4
; Occupancy: 16
; WaveLimiterHint : 0
; COMPUTE_PGM_RSRC2:SCRATCH_EN: 0
; COMPUTE_PGM_RSRC2:USER_SGPR: 14
; COMPUTE_PGM_RSRC2:TRAP_HANDLER: 0
; COMPUTE_PGM_RSRC2:TGID_X_EN: 1
; COMPUTE_PGM_RSRC2:TGID_Y_EN: 0
; COMPUTE_PGM_RSRC2:TGID_Z_EN: 1
; COMPUTE_PGM_RSRC2:TIDIG_COMP_CNT: 0
	.section	.text._ZL26rocblas_haxpy_mlt_8_kernelILi256EDF16_PKfPfEviT0_lT1_llT2_lli,"axG",@progbits,_ZL26rocblas_haxpy_mlt_8_kernelILi256EDF16_PKfPfEviT0_lT1_llT2_lli,comdat
	.globl	_ZL26rocblas_haxpy_mlt_8_kernelILi256EDF16_PKfPfEviT0_lT1_llT2_lli ; -- Begin function _ZL26rocblas_haxpy_mlt_8_kernelILi256EDF16_PKfPfEviT0_lT1_llT2_lli
	.p2align	8
	.type	_ZL26rocblas_haxpy_mlt_8_kernelILi256EDF16_PKfPfEviT0_lT1_llT2_lli,@function
_ZL26rocblas_haxpy_mlt_8_kernelILi256EDF16_PKfPfEviT0_lT1_llT2_lli: ; @_ZL26rocblas_haxpy_mlt_8_kernelILi256EDF16_PKfPfEviT0_lT1_llT2_lli
; %bb.0:
	s_load_b64 s[2:3], s[0:1], 0x0
	s_waitcnt lgkmcnt(0)
	s_pack_ll_b32_b16 s4, s3, s3
	s_delay_alu instid0(SALU_CYCLE_1) | instskip(NEXT) | instid1(SALU_CYCLE_1)
	s_and_b32 s4, s4, 0x7fff
	s_cmp_eq_u32 s4, 0
	s_cbranch_scc1 .LBB14_3
; %bb.1:
	v_lshl_or_b32 v0, s14, 8, v0
	v_mov_b32_e32 v1, 0
	s_ashr_i32 s5, s2, 31
	s_mov_b32 s4, s2
	s_mov_b32 s2, exec_lo
	s_delay_alu instid0(VALU_DEP_1) | instskip(NEXT) | instid1(VALU_DEP_1)
	v_lshlrev_b64 v[0:1], 3, v[0:1]
	v_cmpx_gt_i64_e64 s[4:5], v[0:1]
	s_cbranch_execz .LBB14_3
; %bb.2:
	s_clause 0x1
	s_load_b256 s[4:11], s[0:1], 0x10
	s_load_b128 s[16:19], s[0:1], 0x30
	v_lshlrev_b64 v[0:1], 2, v[0:1]
	s_waitcnt lgkmcnt(0)
	s_mul_i32 s1, s15, s9
	s_mul_hi_u32 s2, s15, s8
	s_mul_i32 s0, s15, s8
	s_add_i32 s1, s2, s1
	s_mul_i32 s2, s15, s19
	s_lshl_b64 s[0:1], s[0:1], 2
	s_mul_hi_u32 s8, s15, s18
	s_add_u32 s9, s4, s0
	s_addc_u32 s5, s5, s1
	s_lshl_b64 s[0:1], s[6:7], 2
	s_mul_i32 s4, s15, s18
	s_add_u32 s6, s0, s9
	s_addc_u32 s7, s1, s5
	s_add_i32 s5, s8, s2
	v_add_co_u32 v2, vcc_lo, s6, v0
	s_lshl_b64 s[0:1], s[4:5], 2
	v_add_co_ci_u32_e32 v3, vcc_lo, s7, v1, vcc_lo
	s_add_u32 s2, s10, s0
	s_addc_u32 s4, s11, s1
	s_lshl_b64 s[0:1], s[16:17], 2
	s_delay_alu instid0(SALU_CYCLE_1)
	s_add_u32 s0, s0, s2
	s_addc_u32 s1, s1, s4
	v_add_co_u32 v8, vcc_lo, s0, v0
	v_add_co_ci_u32_e32 v9, vcc_lo, s1, v1, vcc_lo
	global_load_b128 v[0:3], v[2:3], off
	global_load_b128 v[4:7], v[8:9], off
	s_waitcnt vmcnt(0)
	v_pk_fma_f16 v3, s3, v3, v7 op_sel_hi:[0,1,1]
	v_pk_fma_f16 v2, s3, v2, v6 op_sel_hi:[0,1,1]
	v_pk_fma_f16 v1, s3, v1, v5 op_sel_hi:[0,1,1]
	v_pk_fma_f16 v0, s3, v0, v4 op_sel_hi:[0,1,1]
	global_store_b128 v[8:9], v[0:3], off
.LBB14_3:
	s_nop 0
	s_sendmsg sendmsg(MSG_DEALLOC_VGPRS)
	s_endpgm
	.section	.rodata,"a",@progbits
	.p2align	6, 0x0
	.amdhsa_kernel _ZL26rocblas_haxpy_mlt_8_kernelILi256EDF16_PKfPfEviT0_lT1_llT2_lli
		.amdhsa_group_segment_fixed_size 0
		.amdhsa_private_segment_fixed_size 0
		.amdhsa_kernarg_size 68
		.amdhsa_user_sgpr_count 14
		.amdhsa_user_sgpr_dispatch_ptr 0
		.amdhsa_user_sgpr_queue_ptr 0
		.amdhsa_user_sgpr_kernarg_segment_ptr 1
		.amdhsa_user_sgpr_dispatch_id 0
		.amdhsa_user_sgpr_private_segment_size 0
		.amdhsa_wavefront_size32 1
		.amdhsa_uses_dynamic_stack 0
		.amdhsa_enable_private_segment 0
		.amdhsa_system_sgpr_workgroup_id_x 1
		.amdhsa_system_sgpr_workgroup_id_y 0
		.amdhsa_system_sgpr_workgroup_id_z 1
		.amdhsa_system_sgpr_workgroup_info 0
		.amdhsa_system_vgpr_workitem_id 0
		.amdhsa_next_free_vgpr 10
		.amdhsa_next_free_sgpr 20
		.amdhsa_reserve_vcc 1
		.amdhsa_float_round_mode_32 0
		.amdhsa_float_round_mode_16_64 0
		.amdhsa_float_denorm_mode_32 3
		.amdhsa_float_denorm_mode_16_64 3
		.amdhsa_dx10_clamp 1
		.amdhsa_ieee_mode 1
		.amdhsa_fp16_overflow 0
		.amdhsa_workgroup_processor_mode 1
		.amdhsa_memory_ordered 1
		.amdhsa_forward_progress 0
		.amdhsa_shared_vgpr_count 0
		.amdhsa_exception_fp_ieee_invalid_op 0
		.amdhsa_exception_fp_denorm_src 0
		.amdhsa_exception_fp_ieee_div_zero 0
		.amdhsa_exception_fp_ieee_overflow 0
		.amdhsa_exception_fp_ieee_underflow 0
		.amdhsa_exception_fp_ieee_inexact 0
		.amdhsa_exception_int_div_zero 0
	.end_amdhsa_kernel
	.section	.text._ZL26rocblas_haxpy_mlt_8_kernelILi256EDF16_PKfPfEviT0_lT1_llT2_lli,"axG",@progbits,_ZL26rocblas_haxpy_mlt_8_kernelILi256EDF16_PKfPfEviT0_lT1_llT2_lli,comdat
.Lfunc_end14:
	.size	_ZL26rocblas_haxpy_mlt_8_kernelILi256EDF16_PKfPfEviT0_lT1_llT2_lli, .Lfunc_end14-_ZL26rocblas_haxpy_mlt_8_kernelILi256EDF16_PKfPfEviT0_lT1_llT2_lli
                                        ; -- End function
	.section	.AMDGPU.csdata,"",@progbits
; Kernel info:
; codeLenInByte = 296
; NumSgprs: 22
; NumVgprs: 10
; ScratchSize: 0
; MemoryBound: 0
; FloatMode: 240
; IeeeMode: 1
; LDSByteSize: 0 bytes/workgroup (compile time only)
; SGPRBlocks: 2
; VGPRBlocks: 1
; NumSGPRsForWavesPerEU: 22
; NumVGPRsForWavesPerEU: 10
; Occupancy: 16
; WaveLimiterHint : 0
; COMPUTE_PGM_RSRC2:SCRATCH_EN: 0
; COMPUTE_PGM_RSRC2:USER_SGPR: 14
; COMPUTE_PGM_RSRC2:TRAP_HANDLER: 0
; COMPUTE_PGM_RSRC2:TGID_X_EN: 1
; COMPUTE_PGM_RSRC2:TGID_Y_EN: 0
; COMPUTE_PGM_RSRC2:TGID_Z_EN: 1
; COMPUTE_PGM_RSRC2:TIDIG_COMP_CNT: 0
	.section	.text._ZL26rocblas_haxpy_mod_8_kernelILi256EfPKfPfEviT0_lT1_llT2_lli,"axG",@progbits,_ZL26rocblas_haxpy_mod_8_kernelILi256EfPKfPfEviT0_lT1_llT2_lli,comdat
	.globl	_ZL26rocblas_haxpy_mod_8_kernelILi256EfPKfPfEviT0_lT1_llT2_lli ; -- Begin function _ZL26rocblas_haxpy_mod_8_kernelILi256EfPKfPfEviT0_lT1_llT2_lli
	.p2align	8
	.type	_ZL26rocblas_haxpy_mod_8_kernelILi256EfPKfPfEviT0_lT1_llT2_lli,@function
_ZL26rocblas_haxpy_mod_8_kernelILi256EfPKfPfEviT0_lT1_llT2_lli: ; @_ZL26rocblas_haxpy_mod_8_kernelILi256EfPKfPfEviT0_lT1_llT2_lli
; %bb.0:
	s_load_b64 s[2:3], s[0:1], 0x0
	v_mov_b32_e32 v1, 0
	v_lshl_or_b32 v0, s14, 8, v0
	s_waitcnt lgkmcnt(0)
	s_ashr_i32 s5, s2, 31
	s_mov_b32 s4, s2
	v_cmp_neq_f32_e64 s2, s3, 0
	v_cmp_gt_i64_e32 vcc_lo, s[4:5], v[0:1]
	s_delay_alu instid0(VALU_DEP_2) | instskip(NEXT) | instid1(SALU_CYCLE_1)
	s_and_b32 s2, s2, vcc_lo
	s_and_saveexec_b32 s4, s2
	s_cbranch_execz .LBB15_2
; %bb.1:
	s_clause 0x1
	s_load_b256 s[4:11], s[0:1], 0x10
	s_load_b128 s[16:19], s[0:1], 0x30
	v_lshlrev_b64 v[0:1], 2, v[0:1]
	s_waitcnt lgkmcnt(0)
	s_mul_i32 s1, s15, s9
	s_mul_hi_u32 s2, s15, s8
	s_mul_i32 s0, s15, s8
	s_add_i32 s1, s2, s1
	s_mul_i32 s2, s15, s19
	s_lshl_b64 s[0:1], s[0:1], 2
	s_mul_hi_u32 s8, s15, s18
	s_add_u32 s9, s4, s0
	s_addc_u32 s5, s5, s1
	s_lshl_b64 s[0:1], s[6:7], 2
	s_mul_i32 s4, s15, s18
	s_add_u32 s6, s0, s9
	s_addc_u32 s7, s1, s5
	s_add_i32 s5, s8, s2
	v_add_co_u32 v2, vcc_lo, s6, v0
	s_lshl_b64 s[0:1], s[4:5], 2
	v_add_co_ci_u32_e32 v3, vcc_lo, s7, v1, vcc_lo
	s_add_u32 s2, s10, s0
	s_addc_u32 s4, s11, s1
	s_lshl_b64 s[0:1], s[16:17], 2
	s_delay_alu instid0(SALU_CYCLE_1)
	s_add_u32 s0, s0, s2
	s_addc_u32 s1, s1, s4
	v_add_co_u32 v0, vcc_lo, s0, v0
	v_add_co_ci_u32_e32 v1, vcc_lo, s1, v1, vcc_lo
	global_load_b32 v2, v[2:3], off
	global_load_b32 v3, v[0:1], off
	s_waitcnt vmcnt(0)
	v_fmac_f32_e32 v3, s3, v2
	global_store_b32 v[0:1], v3, off
.LBB15_2:
	s_nop 0
	s_sendmsg sendmsg(MSG_DEALLOC_VGPRS)
	s_endpgm
	.section	.rodata,"a",@progbits
	.p2align	6, 0x0
	.amdhsa_kernel _ZL26rocblas_haxpy_mod_8_kernelILi256EfPKfPfEviT0_lT1_llT2_lli
		.amdhsa_group_segment_fixed_size 0
		.amdhsa_private_segment_fixed_size 0
		.amdhsa_kernarg_size 68
		.amdhsa_user_sgpr_count 14
		.amdhsa_user_sgpr_dispatch_ptr 0
		.amdhsa_user_sgpr_queue_ptr 0
		.amdhsa_user_sgpr_kernarg_segment_ptr 1
		.amdhsa_user_sgpr_dispatch_id 0
		.amdhsa_user_sgpr_private_segment_size 0
		.amdhsa_wavefront_size32 1
		.amdhsa_uses_dynamic_stack 0
		.amdhsa_enable_private_segment 0
		.amdhsa_system_sgpr_workgroup_id_x 1
		.amdhsa_system_sgpr_workgroup_id_y 0
		.amdhsa_system_sgpr_workgroup_id_z 1
		.amdhsa_system_sgpr_workgroup_info 0
		.amdhsa_system_vgpr_workitem_id 0
		.amdhsa_next_free_vgpr 4
		.amdhsa_next_free_sgpr 20
		.amdhsa_reserve_vcc 1
		.amdhsa_float_round_mode_32 0
		.amdhsa_float_round_mode_16_64 0
		.amdhsa_float_denorm_mode_32 3
		.amdhsa_float_denorm_mode_16_64 3
		.amdhsa_dx10_clamp 1
		.amdhsa_ieee_mode 1
		.amdhsa_fp16_overflow 0
		.amdhsa_workgroup_processor_mode 1
		.amdhsa_memory_ordered 1
		.amdhsa_forward_progress 0
		.amdhsa_shared_vgpr_count 0
		.amdhsa_exception_fp_ieee_invalid_op 0
		.amdhsa_exception_fp_denorm_src 0
		.amdhsa_exception_fp_ieee_div_zero 0
		.amdhsa_exception_fp_ieee_overflow 0
		.amdhsa_exception_fp_ieee_underflow 0
		.amdhsa_exception_fp_ieee_inexact 0
		.amdhsa_exception_int_div_zero 0
	.end_amdhsa_kernel
	.section	.text._ZL26rocblas_haxpy_mod_8_kernelILi256EfPKfPfEviT0_lT1_llT2_lli,"axG",@progbits,_ZL26rocblas_haxpy_mod_8_kernelILi256EfPKfPfEviT0_lT1_llT2_lli,comdat
.Lfunc_end15:
	.size	_ZL26rocblas_haxpy_mod_8_kernelILi256EfPKfPfEviT0_lT1_llT2_lli, .Lfunc_end15-_ZL26rocblas_haxpy_mod_8_kernelILi256EfPKfPfEviT0_lT1_llT2_lli
                                        ; -- End function
	.section	.AMDGPU.csdata,"",@progbits
; Kernel info:
; codeLenInByte = 244
; NumSgprs: 22
; NumVgprs: 4
; ScratchSize: 0
; MemoryBound: 0
; FloatMode: 240
; IeeeMode: 1
; LDSByteSize: 0 bytes/workgroup (compile time only)
; SGPRBlocks: 2
; VGPRBlocks: 0
; NumSGPRsForWavesPerEU: 22
; NumVGPRsForWavesPerEU: 4
; Occupancy: 16
; WaveLimiterHint : 0
; COMPUTE_PGM_RSRC2:SCRATCH_EN: 0
; COMPUTE_PGM_RSRC2:USER_SGPR: 14
; COMPUTE_PGM_RSRC2:TRAP_HANDLER: 0
; COMPUTE_PGM_RSRC2:TGID_X_EN: 1
; COMPUTE_PGM_RSRC2:TGID_Y_EN: 0
; COMPUTE_PGM_RSRC2:TGID_Z_EN: 1
; COMPUTE_PGM_RSRC2:TIDIG_COMP_CNT: 0
	.section	.text._ZL22rocblas_saxpy_2_kernelILi256EfPKfS1_PfEviT1_lT2_llT3_lli,"axG",@progbits,_ZL22rocblas_saxpy_2_kernelILi256EfPKfS1_PfEviT1_lT2_llT3_lli,comdat
	.globl	_ZL22rocblas_saxpy_2_kernelILi256EfPKfS1_PfEviT1_lT2_llT3_lli ; -- Begin function _ZL22rocblas_saxpy_2_kernelILi256EfPKfS1_PfEviT1_lT2_llT3_lli
	.p2align	8
	.type	_ZL22rocblas_saxpy_2_kernelILi256EfPKfS1_PfEviT1_lT2_llT3_lli,@function
_ZL22rocblas_saxpy_2_kernelILi256EfPKfS1_PfEviT1_lT2_llT3_lli: ; @_ZL22rocblas_saxpy_2_kernelILi256EfPKfS1_PfEviT1_lT2_llT3_lli
; %bb.0:
	s_load_b128 s[4:7], s[0:1], 0x8
	s_waitcnt lgkmcnt(0)
	s_mul_i32 s2, s15, s7
	s_mul_hi_u32 s3, s15, s6
	s_delay_alu instid0(SALU_CYCLE_1) | instskip(SKIP_1) | instid1(SALU_CYCLE_1)
	s_add_i32 s3, s3, s2
	s_mul_i32 s2, s15, s6
	s_lshl_b64 s[2:3], s[2:3], 2
	s_delay_alu instid0(SALU_CYCLE_1) | instskip(SKIP_4) | instid1(VALU_DEP_1)
	s_add_u32 s2, s4, s2
	s_addc_u32 s3, s5, s3
	s_load_b32 s2, s[2:3], 0x0
	s_waitcnt lgkmcnt(0)
	v_cmp_eq_f32_e64 s3, s2, 0
	s_and_b32 vcc_lo, exec_lo, s3
	s_cbranch_vccnz .LBB16_5
; %bb.1:
	s_clause 0x4
	s_load_b128 s[4:7], s[0:1], 0x20
	s_load_b128 s[8:11], s[0:1], 0x38
	s_load_b64 s[12:13], s[0:1], 0x18
	s_load_b64 s[16:17], s[0:1], 0x30
	s_load_b32 s3, s[0:1], 0x0
	v_dual_mov_b32 v3, 0 :: v_dual_lshlrev_b32 v0, 1, v0
	s_delay_alu instid0(VALU_DEP_1) | instskip(NEXT) | instid1(VALU_DEP_1)
	v_lshl_or_b32 v2, s14, 9, v0
	v_lshlrev_b64 v[0:1], 2, v[2:3]
	s_waitcnt lgkmcnt(0)
	s_mul_i32 s1, s15, s7
	s_mul_hi_u32 s7, s15, s6
	s_mul_i32 s0, s15, s6
	s_add_i32 s1, s7, s1
	s_mul_i32 s7, s15, s11
	s_lshl_b64 s[0:1], s[0:1], 2
	s_mul_hi_u32 s11, s15, s10
	s_add_u32 s12, s12, s0
	s_addc_u32 s13, s13, s1
	s_lshl_b64 s[0:1], s[4:5], 2
	s_mul_i32 s6, s15, s10
	s_add_u32 s4, s12, s0
	s_addc_u32 s5, s13, s1
	s_add_i32 s7, s11, s7
	s_delay_alu instid0(SALU_CYCLE_1) | instskip(NEXT) | instid1(SALU_CYCLE_1)
	s_lshl_b64 s[0:1], s[6:7], 2
	s_add_u32 s6, s16, s0
	s_addc_u32 s7, s17, s1
	s_lshl_b64 s[0:1], s[8:9], 2
	s_mov_b32 s8, exec_lo
	s_add_u32 s6, s6, s0
	s_addc_u32 s7, s7, s1
	s_add_i32 s0, s3, -1
	s_delay_alu instid0(SALU_CYCLE_1) | instskip(NEXT) | instid1(SALU_CYCLE_1)
	s_ashr_i32 s1, s0, 31
	v_cmpx_gt_i64_e64 s[0:1], v[2:3]
	s_cbranch_execz .LBB16_3
; %bb.2:
	v_add_co_u32 v4, vcc_lo, s6, v0
	v_add_co_ci_u32_e32 v5, vcc_lo, s7, v1, vcc_lo
	v_add_co_u32 v6, vcc_lo, s4, v0
	v_add_co_ci_u32_e32 v7, vcc_lo, s5, v1, vcc_lo
	global_load_b64 v[8:9], v[4:5], off
	global_load_b64 v[6:7], v[6:7], off
	s_waitcnt vmcnt(0)
	v_fma_f32 v8, s2, v6, v8
	v_fmac_f32_e32 v9, s2, v7
	global_store_b64 v[4:5], v[8:9], off
.LBB16_3:
	s_or_b32 exec_lo, exec_lo, s8
	v_cmp_eq_u64_e32 vcc_lo, s[0:1], v[2:3]
	s_bitcmp1_b32 s3, 0
	s_cselect_b32 s0, -1, 0
	s_delay_alu instid0(SALU_CYCLE_1) | instskip(NEXT) | instid1(SALU_CYCLE_1)
	s_and_b32 s0, s0, vcc_lo
	s_and_saveexec_b32 s1, s0
	s_cbranch_execz .LBB16_5
; %bb.4:
	v_add_co_u32 v2, vcc_lo, s6, v0
	v_add_co_ci_u32_e32 v3, vcc_lo, s7, v1, vcc_lo
	v_add_co_u32 v0, vcc_lo, s4, v0
	v_add_co_ci_u32_e32 v1, vcc_lo, s5, v1, vcc_lo
	global_load_b32 v4, v[2:3], off
	global_load_b32 v0, v[0:1], off
	s_waitcnt vmcnt(0)
	v_fmac_f32_e32 v4, s2, v0
	global_store_b32 v[2:3], v4, off
.LBB16_5:
	s_nop 0
	s_sendmsg sendmsg(MSG_DEALLOC_VGPRS)
	s_endpgm
	.section	.rodata,"a",@progbits
	.p2align	6, 0x0
	.amdhsa_kernel _ZL22rocblas_saxpy_2_kernelILi256EfPKfS1_PfEviT1_lT2_llT3_lli
		.amdhsa_group_segment_fixed_size 0
		.amdhsa_private_segment_fixed_size 0
		.amdhsa_kernarg_size 76
		.amdhsa_user_sgpr_count 14
		.amdhsa_user_sgpr_dispatch_ptr 0
		.amdhsa_user_sgpr_queue_ptr 0
		.amdhsa_user_sgpr_kernarg_segment_ptr 1
		.amdhsa_user_sgpr_dispatch_id 0
		.amdhsa_user_sgpr_private_segment_size 0
		.amdhsa_wavefront_size32 1
		.amdhsa_uses_dynamic_stack 0
		.amdhsa_enable_private_segment 0
		.amdhsa_system_sgpr_workgroup_id_x 1
		.amdhsa_system_sgpr_workgroup_id_y 0
		.amdhsa_system_sgpr_workgroup_id_z 1
		.amdhsa_system_sgpr_workgroup_info 0
		.amdhsa_system_vgpr_workitem_id 0
		.amdhsa_next_free_vgpr 10
		.amdhsa_next_free_sgpr 18
		.amdhsa_reserve_vcc 1
		.amdhsa_float_round_mode_32 0
		.amdhsa_float_round_mode_16_64 0
		.amdhsa_float_denorm_mode_32 3
		.amdhsa_float_denorm_mode_16_64 3
		.amdhsa_dx10_clamp 1
		.amdhsa_ieee_mode 1
		.amdhsa_fp16_overflow 0
		.amdhsa_workgroup_processor_mode 1
		.amdhsa_memory_ordered 1
		.amdhsa_forward_progress 0
		.amdhsa_shared_vgpr_count 0
		.amdhsa_exception_fp_ieee_invalid_op 0
		.amdhsa_exception_fp_denorm_src 0
		.amdhsa_exception_fp_ieee_div_zero 0
		.amdhsa_exception_fp_ieee_overflow 0
		.amdhsa_exception_fp_ieee_underflow 0
		.amdhsa_exception_fp_ieee_inexact 0
		.amdhsa_exception_int_div_zero 0
	.end_amdhsa_kernel
	.section	.text._ZL22rocblas_saxpy_2_kernelILi256EfPKfS1_PfEviT1_lT2_llT3_lli,"axG",@progbits,_ZL22rocblas_saxpy_2_kernelILi256EfPKfS1_PfEviT1_lT2_llT3_lli,comdat
.Lfunc_end16:
	.size	_ZL22rocblas_saxpy_2_kernelILi256EfPKfS1_PfEviT1_lT2_llT3_lli, .Lfunc_end16-_ZL22rocblas_saxpy_2_kernelILi256EfPKfS1_PfEviT1_lT2_llT3_lli
                                        ; -- End function
	.section	.AMDGPU.csdata,"",@progbits
; Kernel info:
; codeLenInByte = 428
; NumSgprs: 20
; NumVgprs: 10
; ScratchSize: 0
; MemoryBound: 0
; FloatMode: 240
; IeeeMode: 1
; LDSByteSize: 0 bytes/workgroup (compile time only)
; SGPRBlocks: 2
; VGPRBlocks: 1
; NumSGPRsForWavesPerEU: 20
; NumVGPRsForWavesPerEU: 10
; Occupancy: 16
; WaveLimiterHint : 0
; COMPUTE_PGM_RSRC2:SCRATCH_EN: 0
; COMPUTE_PGM_RSRC2:USER_SGPR: 14
; COMPUTE_PGM_RSRC2:TRAP_HANDLER: 0
; COMPUTE_PGM_RSRC2:TGID_X_EN: 1
; COMPUTE_PGM_RSRC2:TGID_Y_EN: 0
; COMPUTE_PGM_RSRC2:TGID_Z_EN: 1
; COMPUTE_PGM_RSRC2:TIDIG_COMP_CNT: 0
	.section	.text._ZL22rocblas_saxpy_2_kernelILi256EffPKfPfEviT1_lT2_llT3_lli,"axG",@progbits,_ZL22rocblas_saxpy_2_kernelILi256EffPKfPfEviT1_lT2_llT3_lli,comdat
	.globl	_ZL22rocblas_saxpy_2_kernelILi256EffPKfPfEviT1_lT2_llT3_lli ; -- Begin function _ZL22rocblas_saxpy_2_kernelILi256EffPKfPfEviT1_lT2_llT3_lli
	.p2align	8
	.type	_ZL22rocblas_saxpy_2_kernelILi256EffPKfPfEviT1_lT2_llT3_lli,@function
_ZL22rocblas_saxpy_2_kernelILi256EffPKfPfEviT1_lT2_llT3_lli: ; @_ZL22rocblas_saxpy_2_kernelILi256EffPKfPfEviT1_lT2_llT3_lli
; %bb.0:
	s_load_b64 s[2:3], s[0:1], 0x0
	s_waitcnt lgkmcnt(0)
	v_cmp_eq_f32_e64 s4, s3, 0
	s_delay_alu instid0(VALU_DEP_1)
	s_and_b32 vcc_lo, exec_lo, s4
	s_cbranch_vccnz .LBB17_5
; %bb.1:
	s_clause 0x3
	s_load_b128 s[4:7], s[0:1], 0x18
	s_load_b128 s[8:11], s[0:1], 0x30
	s_load_b64 s[12:13], s[0:1], 0x10
	s_load_b64 s[0:1], s[0:1], 0x28
	v_dual_mov_b32 v3, 0 :: v_dual_lshlrev_b32 v0, 1, v0
	s_delay_alu instid0(VALU_DEP_1) | instskip(NEXT) | instid1(VALU_DEP_1)
	v_lshl_or_b32 v2, s14, 9, v0
	v_lshlrev_b64 v[0:1], 2, v[2:3]
	s_waitcnt lgkmcnt(0)
	s_mul_i32 s7, s15, s7
	s_mul_hi_u32 s16, s15, s6
	s_mul_i32 s6, s15, s6
	s_add_i32 s7, s16, s7
	s_mul_i32 s11, s15, s11
	s_lshl_b64 s[6:7], s[6:7], 2
	s_mul_hi_u32 s16, s15, s10
	s_add_u32 s12, s12, s6
	s_addc_u32 s7, s13, s7
	s_lshl_b64 s[4:5], s[4:5], 2
	s_mul_i32 s6, s15, s10
	s_add_u32 s4, s12, s4
	s_addc_u32 s5, s7, s5
	s_add_i32 s7, s16, s11
	s_delay_alu instid0(SALU_CYCLE_1) | instskip(NEXT) | instid1(SALU_CYCLE_1)
	s_lshl_b64 s[6:7], s[6:7], 2
	s_add_u32 s6, s0, s6
	s_addc_u32 s7, s1, s7
	s_lshl_b64 s[0:1], s[8:9], 2
	s_mov_b32 s8, exec_lo
	s_add_u32 s6, s6, s0
	s_addc_u32 s7, s7, s1
	s_add_i32 s0, s2, -1
	s_delay_alu instid0(SALU_CYCLE_1) | instskip(NEXT) | instid1(SALU_CYCLE_1)
	s_ashr_i32 s1, s0, 31
	v_cmpx_gt_i64_e64 s[0:1], v[2:3]
	s_cbranch_execz .LBB17_3
; %bb.2:
	v_add_co_u32 v4, vcc_lo, s6, v0
	v_add_co_ci_u32_e32 v5, vcc_lo, s7, v1, vcc_lo
	v_add_co_u32 v6, vcc_lo, s4, v0
	v_add_co_ci_u32_e32 v7, vcc_lo, s5, v1, vcc_lo
	global_load_b64 v[8:9], v[4:5], off
	global_load_b64 v[6:7], v[6:7], off
	s_waitcnt vmcnt(0)
	v_fma_f32 v8, s3, v6, v8
	v_fmac_f32_e32 v9, s3, v7
	global_store_b64 v[4:5], v[8:9], off
.LBB17_3:
	s_or_b32 exec_lo, exec_lo, s8
	v_cmp_eq_u64_e32 vcc_lo, s[0:1], v[2:3]
	s_bitcmp1_b32 s2, 0
	s_cselect_b32 s0, -1, 0
	s_delay_alu instid0(SALU_CYCLE_1) | instskip(NEXT) | instid1(SALU_CYCLE_1)
	s_and_b32 s0, s0, vcc_lo
	s_and_saveexec_b32 s1, s0
	s_cbranch_execz .LBB17_5
; %bb.4:
	v_add_co_u32 v2, vcc_lo, s6, v0
	v_add_co_ci_u32_e32 v3, vcc_lo, s7, v1, vcc_lo
	v_add_co_u32 v0, vcc_lo, s4, v0
	v_add_co_ci_u32_e32 v1, vcc_lo, s5, v1, vcc_lo
	global_load_b32 v4, v[2:3], off
	global_load_b32 v0, v[0:1], off
	s_waitcnt vmcnt(0)
	v_fmac_f32_e32 v4, s3, v0
	global_store_b32 v[2:3], v4, off
.LBB17_5:
	s_nop 0
	s_sendmsg sendmsg(MSG_DEALLOC_VGPRS)
	s_endpgm
	.section	.rodata,"a",@progbits
	.p2align	6, 0x0
	.amdhsa_kernel _ZL22rocblas_saxpy_2_kernelILi256EffPKfPfEviT1_lT2_llT3_lli
		.amdhsa_group_segment_fixed_size 0
		.amdhsa_private_segment_fixed_size 0
		.amdhsa_kernarg_size 68
		.amdhsa_user_sgpr_count 14
		.amdhsa_user_sgpr_dispatch_ptr 0
		.amdhsa_user_sgpr_queue_ptr 0
		.amdhsa_user_sgpr_kernarg_segment_ptr 1
		.amdhsa_user_sgpr_dispatch_id 0
		.amdhsa_user_sgpr_private_segment_size 0
		.amdhsa_wavefront_size32 1
		.amdhsa_uses_dynamic_stack 0
		.amdhsa_enable_private_segment 0
		.amdhsa_system_sgpr_workgroup_id_x 1
		.amdhsa_system_sgpr_workgroup_id_y 0
		.amdhsa_system_sgpr_workgroup_id_z 1
		.amdhsa_system_sgpr_workgroup_info 0
		.amdhsa_system_vgpr_workitem_id 0
		.amdhsa_next_free_vgpr 10
		.amdhsa_next_free_sgpr 17
		.amdhsa_reserve_vcc 1
		.amdhsa_float_round_mode_32 0
		.amdhsa_float_round_mode_16_64 0
		.amdhsa_float_denorm_mode_32 3
		.amdhsa_float_denorm_mode_16_64 3
		.amdhsa_dx10_clamp 1
		.amdhsa_ieee_mode 1
		.amdhsa_fp16_overflow 0
		.amdhsa_workgroup_processor_mode 1
		.amdhsa_memory_ordered 1
		.amdhsa_forward_progress 0
		.amdhsa_shared_vgpr_count 0
		.amdhsa_exception_fp_ieee_invalid_op 0
		.amdhsa_exception_fp_denorm_src 0
		.amdhsa_exception_fp_ieee_div_zero 0
		.amdhsa_exception_fp_ieee_overflow 0
		.amdhsa_exception_fp_ieee_underflow 0
		.amdhsa_exception_fp_ieee_inexact 0
		.amdhsa_exception_int_div_zero 0
	.end_amdhsa_kernel
	.section	.text._ZL22rocblas_saxpy_2_kernelILi256EffPKfPfEviT1_lT2_llT3_lli,"axG",@progbits,_ZL22rocblas_saxpy_2_kernelILi256EffPKfPfEviT1_lT2_llT3_lli,comdat
.Lfunc_end17:
	.size	_ZL22rocblas_saxpy_2_kernelILi256EffPKfPfEviT1_lT2_llT3_lli, .Lfunc_end17-_ZL22rocblas_saxpy_2_kernelILi256EffPKfPfEviT1_lT2_llT3_lli
                                        ; -- End function
	.section	.AMDGPU.csdata,"",@progbits
; Kernel info:
; codeLenInByte = 376
; NumSgprs: 19
; NumVgprs: 10
; ScratchSize: 0
; MemoryBound: 0
; FloatMode: 240
; IeeeMode: 1
; LDSByteSize: 0 bytes/workgroup (compile time only)
; SGPRBlocks: 2
; VGPRBlocks: 1
; NumSGPRsForWavesPerEU: 19
; NumVGPRsForWavesPerEU: 10
; Occupancy: 16
; WaveLimiterHint : 0
; COMPUTE_PGM_RSRC2:SCRATCH_EN: 0
; COMPUTE_PGM_RSRC2:USER_SGPR: 14
; COMPUTE_PGM_RSRC2:TRAP_HANDLER: 0
; COMPUTE_PGM_RSRC2:TGID_X_EN: 1
; COMPUTE_PGM_RSRC2:TGID_Y_EN: 0
; COMPUTE_PGM_RSRC2:TGID_Z_EN: 1
; COMPUTE_PGM_RSRC2:TIDIG_COMP_CNT: 0
	.section	.text._ZL27rocblas_axpy_kernel_batchedIiLi128ELi8EfPKfS1_PfEviT3_lT4_lT_lT5_lS5_li,"axG",@progbits,_ZL27rocblas_axpy_kernel_batchedIiLi128ELi8EfPKfS1_PfEviT3_lT4_lT_lT5_lS5_li,comdat
	.globl	_ZL27rocblas_axpy_kernel_batchedIiLi128ELi8EfPKfS1_PfEviT3_lT4_lT_lT5_lS5_li ; -- Begin function _ZL27rocblas_axpy_kernel_batchedIiLi128ELi8EfPKfS1_PfEviT3_lT4_lT_lT5_lS5_li
	.p2align	8
	.type	_ZL27rocblas_axpy_kernel_batchedIiLi128ELi8EfPKfS1_PfEviT3_lT4_lT_lT5_lS5_li,@function
_ZL27rocblas_axpy_kernel_batchedIiLi128ELi8EfPKfS1_PfEviT3_lT4_lT_lT5_lS5_li: ; @_ZL27rocblas_axpy_kernel_batchedIiLi128ELi8EfPKfS1_PfEviT3_lT4_lT_lT5_lS5_li
; %bb.0:
	s_load_b32 s2, s[0:1], 0x0
	v_dual_mov_b32 v2, 0 :: v_dual_and_b32 v1, 0x3ff, v0
	s_delay_alu instid0(VALU_DEP_1)
	v_lshl_add_u32 v1, s14, 7, v1
	s_waitcnt lgkmcnt(0)
	s_ashr_i32 s3, s2, 31
	s_delay_alu instid0(VALU_DEP_1) | instid1(SALU_CYCLE_1)
	v_cmp_gt_i64_e32 vcc_lo, s[2:3], v[1:2]
	s_and_saveexec_b32 s2, vcc_lo
	s_cbranch_execz .LBB18_13
; %bb.1:
	s_clause 0x6
	s_load_b32 s13, s[0:1], 0x28
	s_load_b32 s14, s[0:1], 0x48
	s_load_b256 s[4:11], s[0:1], 0x8
	s_load_b128 s[16:19], s[0:1], 0x30
	s_load_b64 s[2:3], s[0:1], 0x50
	s_load_b32 s12, s[0:1], 0x58
	s_load_b64 s[0:1], s[0:1], 0x40
	v_bfe_u32 v0, v0, 10, 10
	s_waitcnt lgkmcnt(0)
	v_mad_u64_u32 v[2:3], null, s13, v1, 0
	v_mad_u64_u32 v[5:6], null, s14, v1, 0
	s_ashr_i32 s13, s13, 31
	s_lshl_b64 s[10:11], s[10:11], 2
	s_delay_alu instid0(VALU_DEP_1) | instskip(NEXT) | instid1(VALU_DEP_1)
	v_mov_b32_e32 v4, v6
	v_mad_u64_u32 v[6:7], null, s13, v1, v[3:4]
	s_ashr_i32 s13, s14, 31
	s_add_u32 s8, s10, s8
	s_delay_alu instid0(VALU_DEP_3) | instskip(SKIP_2) | instid1(VALU_DEP_3)
	v_mad_u64_u32 v[7:8], null, s13, v1, v[4:5]
	v_lshlrev_b32_e32 v4, 2, v0
	s_addc_u32 s9, s11, s9
	v_mov_b32_e32 v3, v6
	s_lshl_b64 s[0:1], s[0:1], 2
	s_delay_alu instid0(SALU_CYCLE_1) | instskip(NEXT) | instid1(VALU_DEP_3)
	s_add_u32 s0, s0, s18
	v_mov_b32_e32 v6, v7
	s_delay_alu instid0(VALU_DEP_2) | instskip(SKIP_2) | instid1(VALU_DEP_3)
	v_lshlrev_b64 v[0:1], 2, v[2:3]
	s_addc_u32 s1, s1, s19
	v_lshl_add_u32 v4, s15, 5, v4
	v_lshlrev_b64 v[2:3], 2, v[5:6]
	s_delay_alu instid0(VALU_DEP_3) | instskip(NEXT) | instid1(VALU_DEP_4)
	v_add_co_u32 v0, vcc_lo, s8, v0
	v_add_co_ci_u32_e32 v1, vcc_lo, s9, v1, vcc_lo
	s_delay_alu instid0(VALU_DEP_3) | instskip(NEXT) | instid1(VALU_DEP_4)
	v_add_co_u32 v2, vcc_lo, s0, v2
	v_add_co_ci_u32_e32 v3, vcc_lo, s1, v3, vcc_lo
	s_mov_b32 s0, exec_lo
	v_cmpx_gt_u32_e64 s12, v4
	s_cbranch_execz .LBB18_4
; %bb.2:
	v_mad_u64_u32 v[5:6], null, v4, s6, 0
	s_delay_alu instid0(VALU_DEP_1) | instskip(NEXT) | instid1(VALU_DEP_1)
	v_mad_u64_u32 v[7:8], null, v4, s7, v[6:7]
	v_mov_b32_e32 v6, v7
	s_delay_alu instid0(VALU_DEP_1) | instskip(NEXT) | instid1(VALU_DEP_1)
	v_lshlrev_b64 v[5:6], 2, v[5:6]
	v_add_co_u32 v5, vcc_lo, s4, v5
	s_delay_alu instid0(VALU_DEP_2)
	v_add_co_ci_u32_e32 v6, vcc_lo, s5, v6, vcc_lo
	global_load_b32 v5, v[5:6], off
	s_waitcnt vmcnt(0)
	v_cmp_neq_f32_e32 vcc_lo, 0, v5
	s_and_b32 exec_lo, exec_lo, vcc_lo
	s_cbranch_execz .LBB18_4
; %bb.3:
	v_mad_u64_u32 v[6:7], null, v4, s2, 0
	v_mad_u64_u32 v[8:9], null, v4, s16, 0
	s_delay_alu instid0(VALU_DEP_1) | instskip(NEXT) | instid1(VALU_DEP_1)
	v_mad_u64_u32 v[10:11], null, v4, s3, v[7:8]
	v_mad_u64_u32 v[11:12], null, v4, s17, v[9:10]
	v_mov_b32_e32 v7, v10
	s_delay_alu instid0(VALU_DEP_1) | instskip(NEXT) | instid1(VALU_DEP_3)
	v_lshlrev_b64 v[6:7], 2, v[6:7]
	v_mov_b32_e32 v9, v11
	s_delay_alu instid0(VALU_DEP_2) | instskip(NEXT) | instid1(VALU_DEP_2)
	v_add_co_u32 v6, vcc_lo, v2, v6
	v_lshlrev_b64 v[8:9], 2, v[8:9]
	s_delay_alu instid0(VALU_DEP_4) | instskip(NEXT) | instid1(VALU_DEP_2)
	v_add_co_ci_u32_e32 v7, vcc_lo, v3, v7, vcc_lo
	v_add_co_u32 v8, vcc_lo, v0, v8
	s_delay_alu instid0(VALU_DEP_3)
	v_add_co_ci_u32_e32 v9, vcc_lo, v1, v9, vcc_lo
	global_load_b32 v10, v[6:7], off
	global_load_b32 v8, v[8:9], off
	s_waitcnt vmcnt(0)
	v_fmac_f32_e32 v10, v5, v8
	global_store_b32 v[6:7], v10, off
.LBB18_4:
	s_or_b32 exec_lo, exec_lo, s0
	v_or_b32_e32 v5, 1, v4
	s_mov_b32 s0, exec_lo
	s_delay_alu instid0(VALU_DEP_1)
	v_cmpx_gt_u32_e64 s12, v5
	s_cbranch_execz .LBB18_7
; %bb.5:
	v_mad_u64_u32 v[6:7], null, v5, s6, 0
	s_delay_alu instid0(VALU_DEP_1) | instskip(NEXT) | instid1(VALU_DEP_1)
	v_mad_u64_u32 v[8:9], null, v5, s7, v[7:8]
	v_mov_b32_e32 v7, v8
	s_delay_alu instid0(VALU_DEP_1) | instskip(NEXT) | instid1(VALU_DEP_1)
	v_lshlrev_b64 v[6:7], 2, v[6:7]
	v_add_co_u32 v6, vcc_lo, s4, v6
	s_delay_alu instid0(VALU_DEP_2)
	v_add_co_ci_u32_e32 v7, vcc_lo, s5, v7, vcc_lo
	global_load_b32 v6, v[6:7], off
	s_waitcnt vmcnt(0)
	v_cmp_neq_f32_e32 vcc_lo, 0, v6
	s_and_b32 exec_lo, exec_lo, vcc_lo
	s_cbranch_execz .LBB18_7
; %bb.6:
	v_mad_u64_u32 v[7:8], null, v5, s2, 0
	v_mad_u64_u32 v[9:10], null, v5, s16, 0
	s_delay_alu instid0(VALU_DEP_1) | instskip(NEXT) | instid1(VALU_DEP_1)
	v_mad_u64_u32 v[11:12], null, v5, s3, v[8:9]
	v_mad_u64_u32 v[12:13], null, v5, s17, v[10:11]
	v_mov_b32_e32 v8, v11
	s_delay_alu instid0(VALU_DEP_1) | instskip(NEXT) | instid1(VALU_DEP_3)
	v_lshlrev_b64 v[7:8], 2, v[7:8]
	v_mov_b32_e32 v10, v12
	s_delay_alu instid0(VALU_DEP_2) | instskip(NEXT) | instid1(VALU_DEP_2)
	v_add_co_u32 v7, vcc_lo, v2, v7
	v_lshlrev_b64 v[9:10], 2, v[9:10]
	s_delay_alu instid0(VALU_DEP_4) | instskip(NEXT) | instid1(VALU_DEP_2)
	v_add_co_ci_u32_e32 v8, vcc_lo, v3, v8, vcc_lo
	v_add_co_u32 v9, vcc_lo, v0, v9
	s_delay_alu instid0(VALU_DEP_3)
	v_add_co_ci_u32_e32 v10, vcc_lo, v1, v10, vcc_lo
	global_load_b32 v5, v[7:8], off
	global_load_b32 v9, v[9:10], off
	s_waitcnt vmcnt(0)
	v_fmac_f32_e32 v5, v6, v9
	global_store_b32 v[7:8], v5, off
.LBB18_7:
	s_or_b32 exec_lo, exec_lo, s0
	v_or_b32_e32 v5, 2, v4
	s_mov_b32 s0, exec_lo
	s_delay_alu instid0(VALU_DEP_1)
	v_cmpx_gt_u32_e64 s12, v5
	s_cbranch_execz .LBB18_10
; %bb.8:
	v_mad_u64_u32 v[6:7], null, v5, s6, 0
	s_delay_alu instid0(VALU_DEP_1) | instskip(NEXT) | instid1(VALU_DEP_1)
	v_mad_u64_u32 v[8:9], null, v5, s7, v[7:8]
	v_mov_b32_e32 v7, v8
	s_delay_alu instid0(VALU_DEP_1) | instskip(NEXT) | instid1(VALU_DEP_1)
	v_lshlrev_b64 v[6:7], 2, v[6:7]
	v_add_co_u32 v6, vcc_lo, s4, v6
	s_delay_alu instid0(VALU_DEP_2)
	v_add_co_ci_u32_e32 v7, vcc_lo, s5, v7, vcc_lo
	global_load_b32 v6, v[6:7], off
	s_waitcnt vmcnt(0)
	v_cmp_neq_f32_e32 vcc_lo, 0, v6
	s_and_b32 exec_lo, exec_lo, vcc_lo
	s_cbranch_execz .LBB18_10
; %bb.9:
	v_mad_u64_u32 v[7:8], null, v5, s2, 0
	v_mad_u64_u32 v[9:10], null, v5, s16, 0
	s_delay_alu instid0(VALU_DEP_1) | instskip(NEXT) | instid1(VALU_DEP_1)
	v_mad_u64_u32 v[11:12], null, v5, s3, v[8:9]
	v_mad_u64_u32 v[12:13], null, v5, s17, v[10:11]
	v_mov_b32_e32 v8, v11
	s_delay_alu instid0(VALU_DEP_1) | instskip(NEXT) | instid1(VALU_DEP_3)
	v_lshlrev_b64 v[7:8], 2, v[7:8]
	v_mov_b32_e32 v10, v12
	s_delay_alu instid0(VALU_DEP_2) | instskip(NEXT) | instid1(VALU_DEP_2)
	v_add_co_u32 v7, vcc_lo, v2, v7
	v_lshlrev_b64 v[9:10], 2, v[9:10]
	s_delay_alu instid0(VALU_DEP_4) | instskip(NEXT) | instid1(VALU_DEP_2)
	v_add_co_ci_u32_e32 v8, vcc_lo, v3, v8, vcc_lo
	v_add_co_u32 v9, vcc_lo, v0, v9
	s_delay_alu instid0(VALU_DEP_3)
	v_add_co_ci_u32_e32 v10, vcc_lo, v1, v10, vcc_lo
	global_load_b32 v5, v[7:8], off
	global_load_b32 v9, v[9:10], off
	s_waitcnt vmcnt(0)
	v_fmac_f32_e32 v5, v6, v9
	global_store_b32 v[7:8], v5, off
.LBB18_10:
	s_or_b32 exec_lo, exec_lo, s0
	v_or_b32_e32 v4, 3, v4
	s_delay_alu instid0(VALU_DEP_1)
	v_cmp_gt_u32_e32 vcc_lo, s12, v4
	s_and_b32 exec_lo, exec_lo, vcc_lo
	s_cbranch_execz .LBB18_13
; %bb.11:
	v_mad_u64_u32 v[5:6], null, v4, s6, 0
	s_delay_alu instid0(VALU_DEP_1) | instskip(NEXT) | instid1(VALU_DEP_1)
	v_mad_u64_u32 v[7:8], null, v4, s7, v[6:7]
	v_mov_b32_e32 v6, v7
	s_delay_alu instid0(VALU_DEP_1) | instskip(NEXT) | instid1(VALU_DEP_1)
	v_lshlrev_b64 v[5:6], 2, v[5:6]
	v_add_co_u32 v5, vcc_lo, s4, v5
	s_delay_alu instid0(VALU_DEP_2)
	v_add_co_ci_u32_e32 v6, vcc_lo, s5, v6, vcc_lo
	global_load_b32 v5, v[5:6], off
	s_waitcnt vmcnt(0)
	v_cmp_neq_f32_e32 vcc_lo, 0, v5
	s_and_b32 exec_lo, exec_lo, vcc_lo
	s_cbranch_execz .LBB18_13
; %bb.12:
	v_mad_u64_u32 v[6:7], null, v4, s2, 0
	v_mad_u64_u32 v[8:9], null, v4, s16, 0
	s_delay_alu instid0(VALU_DEP_1) | instskip(NEXT) | instid1(VALU_DEP_1)
	v_mad_u64_u32 v[10:11], null, v4, s3, v[7:8]
	v_mad_u64_u32 v[11:12], null, v4, s17, v[9:10]
	v_mov_b32_e32 v7, v10
	s_delay_alu instid0(VALU_DEP_1) | instskip(NEXT) | instid1(VALU_DEP_3)
	v_lshlrev_b64 v[6:7], 2, v[6:7]
	v_mov_b32_e32 v9, v11
	s_delay_alu instid0(VALU_DEP_2) | instskip(NEXT) | instid1(VALU_DEP_2)
	v_add_co_u32 v2, vcc_lo, v2, v6
	v_lshlrev_b64 v[8:9], 2, v[8:9]
	s_delay_alu instid0(VALU_DEP_4) | instskip(NEXT) | instid1(VALU_DEP_2)
	v_add_co_ci_u32_e32 v3, vcc_lo, v3, v7, vcc_lo
	v_add_co_u32 v0, vcc_lo, v0, v8
	s_delay_alu instid0(VALU_DEP_3)
	v_add_co_ci_u32_e32 v1, vcc_lo, v1, v9, vcc_lo
	global_load_b32 v4, v[2:3], off
	global_load_b32 v0, v[0:1], off
	s_waitcnt vmcnt(0)
	v_fmac_f32_e32 v4, v5, v0
	global_store_b32 v[2:3], v4, off
.LBB18_13:
	s_nop 0
	s_sendmsg sendmsg(MSG_DEALLOC_VGPRS)
	s_endpgm
	.section	.rodata,"a",@progbits
	.p2align	6, 0x0
	.amdhsa_kernel _ZL27rocblas_axpy_kernel_batchedIiLi128ELi8EfPKfS1_PfEviT3_lT4_lT_lT5_lS5_li
		.amdhsa_group_segment_fixed_size 0
		.amdhsa_private_segment_fixed_size 0
		.amdhsa_kernarg_size 92
		.amdhsa_user_sgpr_count 14
		.amdhsa_user_sgpr_dispatch_ptr 0
		.amdhsa_user_sgpr_queue_ptr 0
		.amdhsa_user_sgpr_kernarg_segment_ptr 1
		.amdhsa_user_sgpr_dispatch_id 0
		.amdhsa_user_sgpr_private_segment_size 0
		.amdhsa_wavefront_size32 1
		.amdhsa_uses_dynamic_stack 0
		.amdhsa_enable_private_segment 0
		.amdhsa_system_sgpr_workgroup_id_x 1
		.amdhsa_system_sgpr_workgroup_id_y 0
		.amdhsa_system_sgpr_workgroup_id_z 1
		.amdhsa_system_sgpr_workgroup_info 0
		.amdhsa_system_vgpr_workitem_id 1
		.amdhsa_next_free_vgpr 14
		.amdhsa_next_free_sgpr 20
		.amdhsa_reserve_vcc 1
		.amdhsa_float_round_mode_32 0
		.amdhsa_float_round_mode_16_64 0
		.amdhsa_float_denorm_mode_32 3
		.amdhsa_float_denorm_mode_16_64 3
		.amdhsa_dx10_clamp 1
		.amdhsa_ieee_mode 1
		.amdhsa_fp16_overflow 0
		.amdhsa_workgroup_processor_mode 1
		.amdhsa_memory_ordered 1
		.amdhsa_forward_progress 0
		.amdhsa_shared_vgpr_count 0
		.amdhsa_exception_fp_ieee_invalid_op 0
		.amdhsa_exception_fp_denorm_src 0
		.amdhsa_exception_fp_ieee_div_zero 0
		.amdhsa_exception_fp_ieee_overflow 0
		.amdhsa_exception_fp_ieee_underflow 0
		.amdhsa_exception_fp_ieee_inexact 0
		.amdhsa_exception_int_div_zero 0
	.end_amdhsa_kernel
	.section	.text._ZL27rocblas_axpy_kernel_batchedIiLi128ELi8EfPKfS1_PfEviT3_lT4_lT_lT5_lS5_li,"axG",@progbits,_ZL27rocblas_axpy_kernel_batchedIiLi128ELi8EfPKfS1_PfEviT3_lT4_lT_lT5_lS5_li,comdat
.Lfunc_end18:
	.size	_ZL27rocblas_axpy_kernel_batchedIiLi128ELi8EfPKfS1_PfEviT3_lT4_lT_lT5_lS5_li, .Lfunc_end18-_ZL27rocblas_axpy_kernel_batchedIiLi128ELi8EfPKfS1_PfEviT3_lT4_lT_lT5_lS5_li
                                        ; -- End function
	.section	.AMDGPU.csdata,"",@progbits
; Kernel info:
; codeLenInByte = 1220
; NumSgprs: 22
; NumVgprs: 14
; ScratchSize: 0
; MemoryBound: 0
; FloatMode: 240
; IeeeMode: 1
; LDSByteSize: 0 bytes/workgroup (compile time only)
; SGPRBlocks: 2
; VGPRBlocks: 1
; NumSGPRsForWavesPerEU: 22
; NumVGPRsForWavesPerEU: 14
; Occupancy: 16
; WaveLimiterHint : 0
; COMPUTE_PGM_RSRC2:SCRATCH_EN: 0
; COMPUTE_PGM_RSRC2:USER_SGPR: 14
; COMPUTE_PGM_RSRC2:TRAP_HANDLER: 0
; COMPUTE_PGM_RSRC2:TGID_X_EN: 1
; COMPUTE_PGM_RSRC2:TGID_Y_EN: 0
; COMPUTE_PGM_RSRC2:TGID_Z_EN: 1
; COMPUTE_PGM_RSRC2:TIDIG_COMP_CNT: 1
	.section	.text._ZL27rocblas_axpy_kernel_batchedIiLi128ELi8EffPKfPfEviT3_lT4_lT_lT5_lS5_li,"axG",@progbits,_ZL27rocblas_axpy_kernel_batchedIiLi128ELi8EffPKfPfEviT3_lT4_lT_lT5_lS5_li,comdat
	.globl	_ZL27rocblas_axpy_kernel_batchedIiLi128ELi8EffPKfPfEviT3_lT4_lT_lT5_lS5_li ; -- Begin function _ZL27rocblas_axpy_kernel_batchedIiLi128ELi8EffPKfPfEviT3_lT4_lT_lT5_lS5_li
	.p2align	8
	.type	_ZL27rocblas_axpy_kernel_batchedIiLi128ELi8EffPKfPfEviT3_lT4_lT_lT5_lS5_li,@function
_ZL27rocblas_axpy_kernel_batchedIiLi128ELi8EffPKfPfEviT3_lT4_lT_lT5_lS5_li: ; @_ZL27rocblas_axpy_kernel_batchedIiLi128ELi8EffPKfPfEviT3_lT4_lT_lT5_lS5_li
; %bb.0:
	s_load_b64 s[2:3], s[0:1], 0x0
	v_dual_mov_b32 v2, 0 :: v_dual_and_b32 v1, 0x3ff, v0
	s_delay_alu instid0(VALU_DEP_1)
	v_lshl_add_u32 v1, s14, 7, v1
	s_waitcnt lgkmcnt(0)
	s_ashr_i32 s5, s2, 31
	s_mov_b32 s4, s2
	s_mov_b32 s2, exec_lo
	v_cmpx_gt_i64_e64 s[4:5], v[1:2]
	s_cbranch_execz .LBB19_9
; %bb.1:
	s_clause 0x2
	s_load_b32 s12, s[0:1], 0x20
	s_load_b32 s13, s[0:1], 0x40
	s_load_b128 s[16:19], s[0:1], 0x10
	v_bfe_u32 v4, v0, 10, 10
	s_clause 0x3
	s_load_b64 s[8:9], s[0:1], 0x48
	s_load_b32 s2, s[0:1], 0x50
	s_load_b64 s[10:11], s[0:1], 0x38
	s_load_b128 s[4:7], s[0:1], 0x28
	v_cmp_neq_f32_e64 s1, s3, 0
	s_waitcnt lgkmcnt(0)
	v_mad_u64_u32 v[2:3], null, s12, v1, 0
	v_mad_u64_u32 v[5:6], null, s13, v1, 0
	s_ashr_i32 s0, s12, 31
	s_delay_alu instid0(VALU_DEP_1) | instskip(NEXT) | instid1(VALU_DEP_3)
	v_mov_b32_e32 v0, v6
	v_mad_u64_u32 v[6:7], null, s0, v1, v[3:4]
	v_lshlrev_b32_e32 v3, 2, v4
	s_ashr_i32 s0, s13, 31
	s_lshl_b64 s[12:13], s[18:19], 2
	v_mad_u64_u32 v[7:8], null, s0, v1, v[0:1]
	s_delay_alu instid0(VALU_DEP_2) | instskip(NEXT) | instid1(VALU_DEP_4)
	v_lshl_add_u32 v4, s15, 5, v3
	v_mov_b32_e32 v3, v6
	s_add_u32 s0, s12, s16
	s_addc_u32 s12, s13, s17
	s_lshl_b64 s[10:11], s[10:11], 2
	v_cmp_gt_u32_e32 vcc_lo, s2, v4
	s_delay_alu instid0(VALU_DEP_4) | instskip(SKIP_3) | instid1(VALU_DEP_2)
	v_mov_b32_e32 v6, v7
	v_lshlrev_b64 v[0:1], 2, v[2:3]
	s_add_u32 s6, s10, s6
	s_addc_u32 s7, s11, s7
	v_lshlrev_b64 v[2:3], 2, v[5:6]
	s_delay_alu instid0(VALU_DEP_2) | instskip(NEXT) | instid1(VALU_DEP_1)
	v_add_co_u32 v0, s0, s0, v0
	v_add_co_ci_u32_e64 v1, s0, s12, v1, s0
	s_delay_alu instid0(VALU_DEP_3) | instskip(NEXT) | instid1(VALU_DEP_1)
	v_add_co_u32 v2, s0, s6, v2
	v_add_co_ci_u32_e64 v3, s0, s7, v3, s0
	s_and_b32 s6, s1, vcc_lo
	s_delay_alu instid0(SALU_CYCLE_1)
	s_and_saveexec_b32 s0, s6
	s_cbranch_execz .LBB19_3
; %bb.2:
	v_mad_u64_u32 v[5:6], null, v4, s8, 0
	v_mad_u64_u32 v[7:8], null, v4, s4, 0
	s_delay_alu instid0(VALU_DEP_1) | instskip(NEXT) | instid1(VALU_DEP_1)
	v_mad_u64_u32 v[9:10], null, v4, s9, v[6:7]
	v_mad_u64_u32 v[10:11], null, v4, s5, v[8:9]
	v_mov_b32_e32 v6, v9
	s_delay_alu instid0(VALU_DEP_1) | instskip(NEXT) | instid1(VALU_DEP_3)
	v_lshlrev_b64 v[5:6], 2, v[5:6]
	v_mov_b32_e32 v8, v10
	s_delay_alu instid0(VALU_DEP_2) | instskip(NEXT) | instid1(VALU_DEP_2)
	v_add_co_u32 v5, vcc_lo, v2, v5
	v_lshlrev_b64 v[7:8], 2, v[7:8]
	s_delay_alu instid0(VALU_DEP_4) | instskip(NEXT) | instid1(VALU_DEP_2)
	v_add_co_ci_u32_e32 v6, vcc_lo, v3, v6, vcc_lo
	v_add_co_u32 v7, vcc_lo, v0, v7
	s_delay_alu instid0(VALU_DEP_3)
	v_add_co_ci_u32_e32 v8, vcc_lo, v1, v8, vcc_lo
	global_load_b32 v9, v[5:6], off
	global_load_b32 v7, v[7:8], off
	s_waitcnt vmcnt(0)
	v_fmac_f32_e32 v9, s3, v7
	global_store_b32 v[5:6], v9, off
.LBB19_3:
	s_or_b32 exec_lo, exec_lo, s0
	v_or_b32_e32 v5, 1, v4
	s_delay_alu instid0(VALU_DEP_1) | instskip(SKIP_1) | instid1(SALU_CYCLE_1)
	v_cmp_gt_u32_e32 vcc_lo, s2, v5
	s_and_b32 s6, s1, vcc_lo
	s_and_saveexec_b32 s0, s6
	s_cbranch_execz .LBB19_5
; %bb.4:
	v_mad_u64_u32 v[6:7], null, v5, s8, 0
	v_mad_u64_u32 v[8:9], null, v5, s4, 0
	s_delay_alu instid0(VALU_DEP_1) | instskip(NEXT) | instid1(VALU_DEP_1)
	v_mad_u64_u32 v[10:11], null, v5, s9, v[7:8]
	v_mad_u64_u32 v[11:12], null, v5, s5, v[9:10]
	v_mov_b32_e32 v7, v10
	s_delay_alu instid0(VALU_DEP_1) | instskip(NEXT) | instid1(VALU_DEP_3)
	v_lshlrev_b64 v[5:6], 2, v[6:7]
	v_mov_b32_e32 v9, v11
	s_delay_alu instid0(VALU_DEP_2) | instskip(NEXT) | instid1(VALU_DEP_2)
	v_add_co_u32 v5, vcc_lo, v2, v5
	v_lshlrev_b64 v[7:8], 2, v[8:9]
	s_delay_alu instid0(VALU_DEP_4) | instskip(NEXT) | instid1(VALU_DEP_2)
	v_add_co_ci_u32_e32 v6, vcc_lo, v3, v6, vcc_lo
	v_add_co_u32 v7, vcc_lo, v0, v7
	s_delay_alu instid0(VALU_DEP_3)
	v_add_co_ci_u32_e32 v8, vcc_lo, v1, v8, vcc_lo
	global_load_b32 v9, v[5:6], off
	global_load_b32 v7, v[7:8], off
	s_waitcnt vmcnt(0)
	v_fmac_f32_e32 v9, s3, v7
	global_store_b32 v[5:6], v9, off
.LBB19_5:
	s_or_b32 exec_lo, exec_lo, s0
	v_or_b32_e32 v5, 2, v4
	s_delay_alu instid0(VALU_DEP_1) | instskip(SKIP_1) | instid1(SALU_CYCLE_1)
	v_cmp_gt_u32_e32 vcc_lo, s2, v5
	s_and_b32 s6, s1, vcc_lo
	;; [unrolled: 31-line block ×3, first 2 shown]
	s_and_b32 exec_lo, exec_lo, s0
	s_cbranch_execz .LBB19_9
; %bb.8:
	v_mad_u64_u32 v[5:6], null, v4, s8, 0
	v_mad_u64_u32 v[7:8], null, v4, s4, 0
	s_delay_alu instid0(VALU_DEP_1) | instskip(NEXT) | instid1(VALU_DEP_1)
	v_mad_u64_u32 v[9:10], null, v4, s9, v[6:7]
	v_mad_u64_u32 v[10:11], null, v4, s5, v[8:9]
	v_mov_b32_e32 v6, v9
	s_delay_alu instid0(VALU_DEP_1) | instskip(NEXT) | instid1(VALU_DEP_3)
	v_lshlrev_b64 v[4:5], 2, v[5:6]
	v_mov_b32_e32 v8, v10
	s_delay_alu instid0(VALU_DEP_2) | instskip(NEXT) | instid1(VALU_DEP_2)
	v_add_co_u32 v2, vcc_lo, v2, v4
	v_lshlrev_b64 v[6:7], 2, v[7:8]
	s_delay_alu instid0(VALU_DEP_4) | instskip(NEXT) | instid1(VALU_DEP_2)
	v_add_co_ci_u32_e32 v3, vcc_lo, v3, v5, vcc_lo
	v_add_co_u32 v0, vcc_lo, v0, v6
	s_delay_alu instid0(VALU_DEP_3)
	v_add_co_ci_u32_e32 v1, vcc_lo, v1, v7, vcc_lo
	global_load_b32 v4, v[2:3], off
	global_load_b32 v0, v[0:1], off
	s_waitcnt vmcnt(0)
	v_fmac_f32_e32 v4, s3, v0
	global_store_b32 v[2:3], v4, off
.LBB19_9:
	s_nop 0
	s_sendmsg sendmsg(MSG_DEALLOC_VGPRS)
	s_endpgm
	.section	.rodata,"a",@progbits
	.p2align	6, 0x0
	.amdhsa_kernel _ZL27rocblas_axpy_kernel_batchedIiLi128ELi8EffPKfPfEviT3_lT4_lT_lT5_lS5_li
		.amdhsa_group_segment_fixed_size 0
		.amdhsa_private_segment_fixed_size 0
		.amdhsa_kernarg_size 84
		.amdhsa_user_sgpr_count 14
		.amdhsa_user_sgpr_dispatch_ptr 0
		.amdhsa_user_sgpr_queue_ptr 0
		.amdhsa_user_sgpr_kernarg_segment_ptr 1
		.amdhsa_user_sgpr_dispatch_id 0
		.amdhsa_user_sgpr_private_segment_size 0
		.amdhsa_wavefront_size32 1
		.amdhsa_uses_dynamic_stack 0
		.amdhsa_enable_private_segment 0
		.amdhsa_system_sgpr_workgroup_id_x 1
		.amdhsa_system_sgpr_workgroup_id_y 0
		.amdhsa_system_sgpr_workgroup_id_z 1
		.amdhsa_system_sgpr_workgroup_info 0
		.amdhsa_system_vgpr_workitem_id 1
		.amdhsa_next_free_vgpr 13
		.amdhsa_next_free_sgpr 20
		.amdhsa_reserve_vcc 1
		.amdhsa_float_round_mode_32 0
		.amdhsa_float_round_mode_16_64 0
		.amdhsa_float_denorm_mode_32 3
		.amdhsa_float_denorm_mode_16_64 3
		.amdhsa_dx10_clamp 1
		.amdhsa_ieee_mode 1
		.amdhsa_fp16_overflow 0
		.amdhsa_workgroup_processor_mode 1
		.amdhsa_memory_ordered 1
		.amdhsa_forward_progress 0
		.amdhsa_shared_vgpr_count 0
		.amdhsa_exception_fp_ieee_invalid_op 0
		.amdhsa_exception_fp_denorm_src 0
		.amdhsa_exception_fp_ieee_div_zero 0
		.amdhsa_exception_fp_ieee_overflow 0
		.amdhsa_exception_fp_ieee_underflow 0
		.amdhsa_exception_fp_ieee_inexact 0
		.amdhsa_exception_int_div_zero 0
	.end_amdhsa_kernel
	.section	.text._ZL27rocblas_axpy_kernel_batchedIiLi128ELi8EffPKfPfEviT3_lT4_lT_lT5_lS5_li,"axG",@progbits,_ZL27rocblas_axpy_kernel_batchedIiLi128ELi8EffPKfPfEviT3_lT4_lT_lT5_lS5_li,comdat
.Lfunc_end19:
	.size	_ZL27rocblas_axpy_kernel_batchedIiLi128ELi8EffPKfPfEviT3_lT4_lT_lT5_lS5_li, .Lfunc_end19-_ZL27rocblas_axpy_kernel_batchedIiLi128ELi8EffPKfPfEviT3_lT4_lT_lT5_lS5_li
                                        ; -- End function
	.section	.AMDGPU.csdata,"",@progbits
; Kernel info:
; codeLenInByte = 944
; NumSgprs: 22
; NumVgprs: 13
; ScratchSize: 0
; MemoryBound: 0
; FloatMode: 240
; IeeeMode: 1
; LDSByteSize: 0 bytes/workgroup (compile time only)
; SGPRBlocks: 2
; VGPRBlocks: 1
; NumSGPRsForWavesPerEU: 22
; NumVGPRsForWavesPerEU: 13
; Occupancy: 16
; WaveLimiterHint : 0
; COMPUTE_PGM_RSRC2:SCRATCH_EN: 0
; COMPUTE_PGM_RSRC2:USER_SGPR: 14
; COMPUTE_PGM_RSRC2:TRAP_HANDLER: 0
; COMPUTE_PGM_RSRC2:TGID_X_EN: 1
; COMPUTE_PGM_RSRC2:TGID_Y_EN: 0
; COMPUTE_PGM_RSRC2:TGID_Z_EN: 1
; COMPUTE_PGM_RSRC2:TIDIG_COMP_CNT: 1
	.section	.text._ZL19rocblas_axpy_kernelIiLi256EfPKfS1_PfEviT2_lT3_lT_lT4_lS5_li,"axG",@progbits,_ZL19rocblas_axpy_kernelIiLi256EfPKfS1_PfEviT2_lT3_lT_lT4_lS5_li,comdat
	.globl	_ZL19rocblas_axpy_kernelIiLi256EfPKfS1_PfEviT2_lT3_lT_lT4_lS5_li ; -- Begin function _ZL19rocblas_axpy_kernelIiLi256EfPKfS1_PfEviT2_lT3_lT_lT4_lS5_li
	.p2align	8
	.type	_ZL19rocblas_axpy_kernelIiLi256EfPKfS1_PfEviT2_lT3_lT_lT4_lS5_li,@function
_ZL19rocblas_axpy_kernelIiLi256EfPKfS1_PfEviT2_lT3_lT_lT4_lS5_li: ; @_ZL19rocblas_axpy_kernelIiLi256EfPKfS1_PfEviT2_lT3_lT_lT4_lS5_li
; %bb.0:
	s_clause 0x1
	s_load_b128 s[4:7], s[0:1], 0x8
	s_load_b32 s8, s[0:1], 0x0
	v_lshl_or_b32 v0, s14, 8, v0
	v_mov_b32_e32 v1, 0
	s_waitcnt lgkmcnt(0)
	s_mul_i32 s2, s15, s7
	s_mul_hi_u32 s3, s15, s6
	s_ashr_i32 s9, s8, 31
	s_add_i32 s3, s3, s2
	s_mul_i32 s2, s15, s6
	v_cmp_gt_i64_e32 vcc_lo, s[8:9], v[0:1]
	s_lshl_b64 s[2:3], s[2:3], 2
	s_delay_alu instid0(SALU_CYCLE_1) | instskip(SKIP_4) | instid1(VALU_DEP_1)
	s_add_u32 s2, s4, s2
	s_addc_u32 s3, s5, s3
	s_load_b32 s2, s[2:3], 0x0
	s_waitcnt lgkmcnt(0)
	v_cmp_neq_f32_e64 s3, s2, 0
	s_and_b32 s3, vcc_lo, s3
	s_delay_alu instid0(SALU_CYCLE_1)
	s_and_saveexec_b32 s4, s3
	s_cbranch_execz .LBB20_2
; %bb.1:
	s_clause 0x5
	s_load_b32 s3, s[0:1], 0x28
	s_load_b32 s14, s[0:1], 0x48
	s_load_b128 s[4:7], s[0:1], 0x30
	s_load_b64 s[12:13], s[0:1], 0x50
	s_load_b128 s[8:11], s[0:1], 0x18
	s_load_b64 s[0:1], s[0:1], 0x40
	s_waitcnt lgkmcnt(0)
	v_mad_u64_u32 v[1:2], null, s3, v0, 0
	v_mad_u64_u32 v[3:4], null, s14, v0, 0
	s_ashr_i32 s17, s14, 31
	s_ashr_i32 s16, s3, 31
	s_mul_i32 s3, s15, s5
	s_mul_hi_u32 s5, s15, s4
	s_mul_i32 s4, s15, s4
	s_add_i32 s5, s5, s3
	s_delay_alu instid0(VALU_DEP_1)
	v_mad_u64_u32 v[5:6], null, s17, v0, v[4:5]
	v_mad_u64_u32 v[6:7], null, s16, v0, v[2:3]
	s_lshl_b64 s[4:5], s[4:5], 2
	s_mul_i32 s13, s15, s13
	s_add_u32 s8, s8, s4
	s_addc_u32 s9, s9, s5
	s_lshl_b64 s[4:5], s[10:11], 2
	s_mul_hi_u32 s3, s15, s12
	v_mov_b32_e32 v4, v5
	s_add_u32 s8, s4, s8
	s_mul_i32 s12, s15, s12
	s_addc_u32 s9, s5, s9
	s_add_i32 s13, s3, s13
	v_mov_b32_e32 v2, v6
	s_lshl_b64 s[4:5], s[12:13], 2
	v_lshlrev_b64 v[3:4], 2, v[3:4]
	s_add_u32 s3, s6, s4
	s_addc_u32 s4, s7, s5
	s_lshl_b64 s[0:1], s[0:1], 2
	v_lshlrev_b64 v[0:1], 2, v[1:2]
	s_add_u32 s0, s0, s3
	s_addc_u32 s1, s1, s4
	v_add_co_u32 v2, vcc_lo, s0, v3
	v_add_co_ci_u32_e32 v3, vcc_lo, s1, v4, vcc_lo
	s_delay_alu instid0(VALU_DEP_3)
	v_add_co_u32 v0, vcc_lo, s8, v0
	v_add_co_ci_u32_e32 v1, vcc_lo, s9, v1, vcc_lo
	global_load_b32 v4, v[2:3], off
	global_load_b32 v0, v[0:1], off
	s_waitcnt vmcnt(0)
	v_fmac_f32_e32 v4, s2, v0
	global_store_b32 v[2:3], v4, off
.LBB20_2:
	s_nop 0
	s_sendmsg sendmsg(MSG_DEALLOC_VGPRS)
	s_endpgm
	.section	.rodata,"a",@progbits
	.p2align	6, 0x0
	.amdhsa_kernel _ZL19rocblas_axpy_kernelIiLi256EfPKfS1_PfEviT2_lT3_lT_lT4_lS5_li
		.amdhsa_group_segment_fixed_size 0
		.amdhsa_private_segment_fixed_size 0
		.amdhsa_kernarg_size 92
		.amdhsa_user_sgpr_count 14
		.amdhsa_user_sgpr_dispatch_ptr 0
		.amdhsa_user_sgpr_queue_ptr 0
		.amdhsa_user_sgpr_kernarg_segment_ptr 1
		.amdhsa_user_sgpr_dispatch_id 0
		.amdhsa_user_sgpr_private_segment_size 0
		.amdhsa_wavefront_size32 1
		.amdhsa_uses_dynamic_stack 0
		.amdhsa_enable_private_segment 0
		.amdhsa_system_sgpr_workgroup_id_x 1
		.amdhsa_system_sgpr_workgroup_id_y 0
		.amdhsa_system_sgpr_workgroup_id_z 1
		.amdhsa_system_sgpr_workgroup_info 0
		.amdhsa_system_vgpr_workitem_id 0
		.amdhsa_next_free_vgpr 8
		.amdhsa_next_free_sgpr 18
		.amdhsa_reserve_vcc 1
		.amdhsa_float_round_mode_32 0
		.amdhsa_float_round_mode_16_64 0
		.amdhsa_float_denorm_mode_32 3
		.amdhsa_float_denorm_mode_16_64 3
		.amdhsa_dx10_clamp 1
		.amdhsa_ieee_mode 1
		.amdhsa_fp16_overflow 0
		.amdhsa_workgroup_processor_mode 1
		.amdhsa_memory_ordered 1
		.amdhsa_forward_progress 0
		.amdhsa_shared_vgpr_count 0
		.amdhsa_exception_fp_ieee_invalid_op 0
		.amdhsa_exception_fp_denorm_src 0
		.amdhsa_exception_fp_ieee_div_zero 0
		.amdhsa_exception_fp_ieee_overflow 0
		.amdhsa_exception_fp_ieee_underflow 0
		.amdhsa_exception_fp_ieee_inexact 0
		.amdhsa_exception_int_div_zero 0
	.end_amdhsa_kernel
	.section	.text._ZL19rocblas_axpy_kernelIiLi256EfPKfS1_PfEviT2_lT3_lT_lT4_lS5_li,"axG",@progbits,_ZL19rocblas_axpy_kernelIiLi256EfPKfS1_PfEviT2_lT3_lT_lT4_lS5_li,comdat
.Lfunc_end20:
	.size	_ZL19rocblas_axpy_kernelIiLi256EfPKfS1_PfEviT2_lT3_lT_lT4_lS5_li, .Lfunc_end20-_ZL19rocblas_axpy_kernelIiLi256EfPKfS1_PfEviT2_lT3_lT_lT4_lS5_li
                                        ; -- End function
	.section	.AMDGPU.csdata,"",@progbits
; Kernel info:
; codeLenInByte = 388
; NumSgprs: 20
; NumVgprs: 8
; ScratchSize: 0
; MemoryBound: 0
; FloatMode: 240
; IeeeMode: 1
; LDSByteSize: 0 bytes/workgroup (compile time only)
; SGPRBlocks: 2
; VGPRBlocks: 0
; NumSGPRsForWavesPerEU: 20
; NumVGPRsForWavesPerEU: 8
; Occupancy: 16
; WaveLimiterHint : 0
; COMPUTE_PGM_RSRC2:SCRATCH_EN: 0
; COMPUTE_PGM_RSRC2:USER_SGPR: 14
; COMPUTE_PGM_RSRC2:TRAP_HANDLER: 0
; COMPUTE_PGM_RSRC2:TGID_X_EN: 1
; COMPUTE_PGM_RSRC2:TGID_Y_EN: 0
; COMPUTE_PGM_RSRC2:TGID_Z_EN: 1
; COMPUTE_PGM_RSRC2:TIDIG_COMP_CNT: 0
	.section	.text._ZL19rocblas_axpy_kernelIiLi256EffPKfPfEviT2_lT3_lT_lT4_lS5_li,"axG",@progbits,_ZL19rocblas_axpy_kernelIiLi256EffPKfPfEviT2_lT3_lT_lT4_lS5_li,comdat
	.globl	_ZL19rocblas_axpy_kernelIiLi256EffPKfPfEviT2_lT3_lT_lT4_lS5_li ; -- Begin function _ZL19rocblas_axpy_kernelIiLi256EffPKfPfEviT2_lT3_lT_lT4_lS5_li
	.p2align	8
	.type	_ZL19rocblas_axpy_kernelIiLi256EffPKfPfEviT2_lT3_lT_lT4_lS5_li,@function
_ZL19rocblas_axpy_kernelIiLi256EffPKfPfEviT2_lT3_lT_lT4_lS5_li: ; @_ZL19rocblas_axpy_kernelIiLi256EffPKfPfEviT2_lT3_lT_lT4_lS5_li
; %bb.0:
	s_load_b64 s[2:3], s[0:1], 0x0
	v_mov_b32_e32 v1, 0
	v_lshl_or_b32 v0, s14, 8, v0
	s_waitcnt lgkmcnt(0)
	s_ashr_i32 s5, s2, 31
	s_mov_b32 s4, s2
	v_cmp_neq_f32_e64 s2, s3, 0
	v_cmp_gt_i64_e32 vcc_lo, s[4:5], v[0:1]
	s_delay_alu instid0(VALU_DEP_2) | instskip(NEXT) | instid1(SALU_CYCLE_1)
	s_and_b32 s2, s2, vcc_lo
	s_and_saveexec_b32 s4, s2
	s_cbranch_execz .LBB21_2
; %bb.1:
	s_clause 0x5
	s_load_b32 s2, s[0:1], 0x20
	s_load_b32 s14, s[0:1], 0x40
	s_load_b128 s[4:7], s[0:1], 0x28
	s_load_b64 s[12:13], s[0:1], 0x48
	s_load_b128 s[8:11], s[0:1], 0x10
	s_load_b64 s[0:1], s[0:1], 0x38
	s_waitcnt lgkmcnt(0)
	v_mad_u64_u32 v[1:2], null, s2, v0, 0
	v_mad_u64_u32 v[3:4], null, s14, v0, 0
	s_ashr_i32 s17, s14, 31
	s_ashr_i32 s16, s2, 31
	s_mul_i32 s2, s15, s5
	s_mul_hi_u32 s5, s15, s4
	s_mul_i32 s4, s15, s4
	s_add_i32 s5, s5, s2
	s_delay_alu instid0(VALU_DEP_1)
	v_mad_u64_u32 v[5:6], null, s17, v0, v[4:5]
	v_mad_u64_u32 v[6:7], null, s16, v0, v[2:3]
	s_lshl_b64 s[4:5], s[4:5], 2
	s_mul_i32 s13, s15, s13
	s_add_u32 s8, s8, s4
	s_addc_u32 s9, s9, s5
	s_lshl_b64 s[4:5], s[10:11], 2
	s_mul_hi_u32 s2, s15, s12
	v_mov_b32_e32 v4, v5
	s_add_u32 s8, s4, s8
	s_mul_i32 s12, s15, s12
	s_addc_u32 s9, s5, s9
	s_add_i32 s13, s2, s13
	v_mov_b32_e32 v2, v6
	s_lshl_b64 s[4:5], s[12:13], 2
	v_lshlrev_b64 v[3:4], 2, v[3:4]
	s_add_u32 s2, s6, s4
	s_addc_u32 s4, s7, s5
	s_lshl_b64 s[0:1], s[0:1], 2
	v_lshlrev_b64 v[0:1], 2, v[1:2]
	s_add_u32 s0, s0, s2
	s_addc_u32 s1, s1, s4
	v_add_co_u32 v2, vcc_lo, s0, v3
	v_add_co_ci_u32_e32 v3, vcc_lo, s1, v4, vcc_lo
	s_delay_alu instid0(VALU_DEP_3)
	v_add_co_u32 v0, vcc_lo, s8, v0
	v_add_co_ci_u32_e32 v1, vcc_lo, s9, v1, vcc_lo
	global_load_b32 v4, v[2:3], off
	global_load_b32 v0, v[0:1], off
	s_waitcnt vmcnt(0)
	v_fmac_f32_e32 v4, s3, v0
	global_store_b32 v[2:3], v4, off
.LBB21_2:
	s_nop 0
	s_sendmsg sendmsg(MSG_DEALLOC_VGPRS)
	s_endpgm
	.section	.rodata,"a",@progbits
	.p2align	6, 0x0
	.amdhsa_kernel _ZL19rocblas_axpy_kernelIiLi256EffPKfPfEviT2_lT3_lT_lT4_lS5_li
		.amdhsa_group_segment_fixed_size 0
		.amdhsa_private_segment_fixed_size 0
		.amdhsa_kernarg_size 84
		.amdhsa_user_sgpr_count 14
		.amdhsa_user_sgpr_dispatch_ptr 0
		.amdhsa_user_sgpr_queue_ptr 0
		.amdhsa_user_sgpr_kernarg_segment_ptr 1
		.amdhsa_user_sgpr_dispatch_id 0
		.amdhsa_user_sgpr_private_segment_size 0
		.amdhsa_wavefront_size32 1
		.amdhsa_uses_dynamic_stack 0
		.amdhsa_enable_private_segment 0
		.amdhsa_system_sgpr_workgroup_id_x 1
		.amdhsa_system_sgpr_workgroup_id_y 0
		.amdhsa_system_sgpr_workgroup_id_z 1
		.amdhsa_system_sgpr_workgroup_info 0
		.amdhsa_system_vgpr_workitem_id 0
		.amdhsa_next_free_vgpr 8
		.amdhsa_next_free_sgpr 18
		.amdhsa_reserve_vcc 1
		.amdhsa_float_round_mode_32 0
		.amdhsa_float_round_mode_16_64 0
		.amdhsa_float_denorm_mode_32 3
		.amdhsa_float_denorm_mode_16_64 3
		.amdhsa_dx10_clamp 1
		.amdhsa_ieee_mode 1
		.amdhsa_fp16_overflow 0
		.amdhsa_workgroup_processor_mode 1
		.amdhsa_memory_ordered 1
		.amdhsa_forward_progress 0
		.amdhsa_shared_vgpr_count 0
		.amdhsa_exception_fp_ieee_invalid_op 0
		.amdhsa_exception_fp_denorm_src 0
		.amdhsa_exception_fp_ieee_div_zero 0
		.amdhsa_exception_fp_ieee_overflow 0
		.amdhsa_exception_fp_ieee_underflow 0
		.amdhsa_exception_fp_ieee_inexact 0
		.amdhsa_exception_int_div_zero 0
	.end_amdhsa_kernel
	.section	.text._ZL19rocblas_axpy_kernelIiLi256EffPKfPfEviT2_lT3_lT_lT4_lS5_li,"axG",@progbits,_ZL19rocblas_axpy_kernelIiLi256EffPKfPfEviT2_lT3_lT_lT4_lS5_li,comdat
.Lfunc_end21:
	.size	_ZL19rocblas_axpy_kernelIiLi256EffPKfPfEviT2_lT3_lT_lT4_lS5_li, .Lfunc_end21-_ZL19rocblas_axpy_kernelIiLi256EffPKfPfEviT2_lT3_lT_lT4_lS5_li
                                        ; -- End function
	.section	.AMDGPU.csdata,"",@progbits
; Kernel info:
; codeLenInByte = 336
; NumSgprs: 20
; NumVgprs: 8
; ScratchSize: 0
; MemoryBound: 0
; FloatMode: 240
; IeeeMode: 1
; LDSByteSize: 0 bytes/workgroup (compile time only)
; SGPRBlocks: 2
; VGPRBlocks: 0
; NumSGPRsForWavesPerEU: 20
; NumVGPRsForWavesPerEU: 8
; Occupancy: 16
; WaveLimiterHint : 0
; COMPUTE_PGM_RSRC2:SCRATCH_EN: 0
; COMPUTE_PGM_RSRC2:USER_SGPR: 14
; COMPUTE_PGM_RSRC2:TRAP_HANDLER: 0
; COMPUTE_PGM_RSRC2:TGID_X_EN: 1
; COMPUTE_PGM_RSRC2:TGID_Y_EN: 0
; COMPUTE_PGM_RSRC2:TGID_Z_EN: 1
; COMPUTE_PGM_RSRC2:TIDIG_COMP_CNT: 0
	.section	.text._ZL19rocblas_axpy_kernelIlLi256EfPKfS1_PfEviT2_lT3_lT_lT4_lS5_li,"axG",@progbits,_ZL19rocblas_axpy_kernelIlLi256EfPKfS1_PfEviT2_lT3_lT_lT4_lS5_li,comdat
	.globl	_ZL19rocblas_axpy_kernelIlLi256EfPKfS1_PfEviT2_lT3_lT_lT4_lS5_li ; -- Begin function _ZL19rocblas_axpy_kernelIlLi256EfPKfS1_PfEviT2_lT3_lT_lT4_lS5_li
	.p2align	8
	.type	_ZL19rocblas_axpy_kernelIlLi256EfPKfS1_PfEviT2_lT3_lT_lT4_lS5_li,@function
_ZL19rocblas_axpy_kernelIlLi256EfPKfS1_PfEviT2_lT3_lT_lT4_lS5_li: ; @_ZL19rocblas_axpy_kernelIlLi256EfPKfS1_PfEviT2_lT3_lT_lT4_lS5_li
; %bb.0:
	s_clause 0x1
	s_load_b128 s[4:7], s[0:1], 0x8
	s_load_b32 s8, s[0:1], 0x0
	v_lshl_or_b32 v0, s14, 8, v0
	v_mov_b32_e32 v1, 0
	s_waitcnt lgkmcnt(0)
	s_mul_i32 s2, s15, s7
	s_mul_hi_u32 s3, s15, s6
	s_ashr_i32 s9, s8, 31
	s_add_i32 s3, s3, s2
	s_mul_i32 s2, s15, s6
	v_cmp_gt_i64_e32 vcc_lo, s[8:9], v[0:1]
	s_lshl_b64 s[2:3], s[2:3], 2
	s_delay_alu instid0(SALU_CYCLE_1) | instskip(SKIP_4) | instid1(VALU_DEP_1)
	s_add_u32 s2, s4, s2
	s_addc_u32 s3, s5, s3
	s_load_b32 s2, s[2:3], 0x0
	s_waitcnt lgkmcnt(0)
	v_cmp_neq_f32_e64 s3, s2, 0
	s_and_b32 s3, vcc_lo, s3
	s_delay_alu instid0(SALU_CYCLE_1)
	s_and_saveexec_b32 s4, s3
	s_cbranch_execz .LBB22_2
; %bb.1:
	s_clause 0x3
	s_load_b128 s[16:19], s[0:1], 0x20
	s_load_b256 s[4:11], s[0:1], 0x30
	s_load_b64 s[12:13], s[0:1], 0x50
	s_load_b64 s[0:1], s[0:1], 0x18
	s_waitcnt lgkmcnt(0)
	v_mad_u64_u32 v[1:2], null, v0, s18, 0
	v_mad_u64_u32 v[3:4], null, v0, s10, 0
	s_mul_i32 s3, s15, s5
	s_mul_hi_u32 s5, s15, s4
	s_mul_i32 s4, s15, s4
	s_add_i32 s5, s5, s3
	s_mul_i32 s13, s15, s13
	s_lshl_b64 s[4:5], s[4:5], 2
	s_delay_alu instid0(VALU_DEP_1)
	v_mad_u64_u32 v[5:6], null, v0, s11, v[4:5]
	v_mad_u64_u32 v[6:7], null, v0, s19, v[2:3]
	s_add_u32 s4, s0, s4
	s_addc_u32 s5, s1, s5
	s_lshl_b64 s[0:1], s[16:17], 2
	s_mul_hi_u32 s3, s15, s12
	s_delay_alu instid0(VALU_DEP_2)
	v_mov_b32_e32 v4, v5
	s_add_u32 s4, s0, s4
	s_mul_i32 s10, s15, s12
	s_addc_u32 s5, s1, s5
	s_add_i32 s11, s3, s13
	v_mov_b32_e32 v2, v6
	s_lshl_b64 s[0:1], s[10:11], 2
	v_lshlrev_b64 v[3:4], 2, v[3:4]
	s_add_u32 s3, s6, s0
	s_addc_u32 s6, s7, s1
	s_lshl_b64 s[0:1], s[8:9], 2
	v_lshlrev_b64 v[0:1], 2, v[1:2]
	s_add_u32 s0, s0, s3
	s_addc_u32 s1, s1, s6
	v_add_co_u32 v2, vcc_lo, s0, v3
	v_add_co_ci_u32_e32 v3, vcc_lo, s1, v4, vcc_lo
	s_delay_alu instid0(VALU_DEP_3)
	v_add_co_u32 v0, vcc_lo, s4, v0
	v_add_co_ci_u32_e32 v1, vcc_lo, s5, v1, vcc_lo
	global_load_b32 v4, v[2:3], off
	global_load_b32 v0, v[0:1], off
	s_waitcnt vmcnt(0)
	v_fmac_f32_e32 v4, s2, v0
	global_store_b32 v[2:3], v4, off
.LBB22_2:
	s_nop 0
	s_sendmsg sendmsg(MSG_DEALLOC_VGPRS)
	s_endpgm
	.section	.rodata,"a",@progbits
	.p2align	6, 0x0
	.amdhsa_kernel _ZL19rocblas_axpy_kernelIlLi256EfPKfS1_PfEviT2_lT3_lT_lT4_lS5_li
		.amdhsa_group_segment_fixed_size 0
		.amdhsa_private_segment_fixed_size 0
		.amdhsa_kernarg_size 92
		.amdhsa_user_sgpr_count 14
		.amdhsa_user_sgpr_dispatch_ptr 0
		.amdhsa_user_sgpr_queue_ptr 0
		.amdhsa_user_sgpr_kernarg_segment_ptr 1
		.amdhsa_user_sgpr_dispatch_id 0
		.amdhsa_user_sgpr_private_segment_size 0
		.amdhsa_wavefront_size32 1
		.amdhsa_uses_dynamic_stack 0
		.amdhsa_enable_private_segment 0
		.amdhsa_system_sgpr_workgroup_id_x 1
		.amdhsa_system_sgpr_workgroup_id_y 0
		.amdhsa_system_sgpr_workgroup_id_z 1
		.amdhsa_system_sgpr_workgroup_info 0
		.amdhsa_system_vgpr_workitem_id 0
		.amdhsa_next_free_vgpr 8
		.amdhsa_next_free_sgpr 20
		.amdhsa_reserve_vcc 1
		.amdhsa_float_round_mode_32 0
		.amdhsa_float_round_mode_16_64 0
		.amdhsa_float_denorm_mode_32 3
		.amdhsa_float_denorm_mode_16_64 3
		.amdhsa_dx10_clamp 1
		.amdhsa_ieee_mode 1
		.amdhsa_fp16_overflow 0
		.amdhsa_workgroup_processor_mode 1
		.amdhsa_memory_ordered 1
		.amdhsa_forward_progress 0
		.amdhsa_shared_vgpr_count 0
		.amdhsa_exception_fp_ieee_invalid_op 0
		.amdhsa_exception_fp_denorm_src 0
		.amdhsa_exception_fp_ieee_div_zero 0
		.amdhsa_exception_fp_ieee_overflow 0
		.amdhsa_exception_fp_ieee_underflow 0
		.amdhsa_exception_fp_ieee_inexact 0
		.amdhsa_exception_int_div_zero 0
	.end_amdhsa_kernel
	.section	.text._ZL19rocblas_axpy_kernelIlLi256EfPKfS1_PfEviT2_lT3_lT_lT4_lS5_li,"axG",@progbits,_ZL19rocblas_axpy_kernelIlLi256EfPKfS1_PfEviT2_lT3_lT_lT4_lS5_li,comdat
.Lfunc_end22:
	.size	_ZL19rocblas_axpy_kernelIlLi256EfPKfS1_PfEviT2_lT3_lT_lT4_lS5_li, .Lfunc_end22-_ZL19rocblas_axpy_kernelIlLi256EfPKfS1_PfEviT2_lT3_lT_lT4_lS5_li
                                        ; -- End function
	.section	.AMDGPU.csdata,"",@progbits
; Kernel info:
; codeLenInByte = 368
; NumSgprs: 22
; NumVgprs: 8
; ScratchSize: 0
; MemoryBound: 0
; FloatMode: 240
; IeeeMode: 1
; LDSByteSize: 0 bytes/workgroup (compile time only)
; SGPRBlocks: 2
; VGPRBlocks: 0
; NumSGPRsForWavesPerEU: 22
; NumVGPRsForWavesPerEU: 8
; Occupancy: 16
; WaveLimiterHint : 0
; COMPUTE_PGM_RSRC2:SCRATCH_EN: 0
; COMPUTE_PGM_RSRC2:USER_SGPR: 14
; COMPUTE_PGM_RSRC2:TRAP_HANDLER: 0
; COMPUTE_PGM_RSRC2:TGID_X_EN: 1
; COMPUTE_PGM_RSRC2:TGID_Y_EN: 0
; COMPUTE_PGM_RSRC2:TGID_Z_EN: 1
; COMPUTE_PGM_RSRC2:TIDIG_COMP_CNT: 0
	.section	.text._ZL19rocblas_axpy_kernelIlLi256EffPKfPfEviT2_lT3_lT_lT4_lS5_li,"axG",@progbits,_ZL19rocblas_axpy_kernelIlLi256EffPKfPfEviT2_lT3_lT_lT4_lS5_li,comdat
	.globl	_ZL19rocblas_axpy_kernelIlLi256EffPKfPfEviT2_lT3_lT_lT4_lS5_li ; -- Begin function _ZL19rocblas_axpy_kernelIlLi256EffPKfPfEviT2_lT3_lT_lT4_lS5_li
	.p2align	8
	.type	_ZL19rocblas_axpy_kernelIlLi256EffPKfPfEviT2_lT3_lT_lT4_lS5_li,@function
_ZL19rocblas_axpy_kernelIlLi256EffPKfPfEviT2_lT3_lT_lT4_lS5_li: ; @_ZL19rocblas_axpy_kernelIlLi256EffPKfPfEviT2_lT3_lT_lT4_lS5_li
; %bb.0:
	s_load_b64 s[2:3], s[0:1], 0x0
	v_mov_b32_e32 v1, 0
	v_lshl_or_b32 v0, s14, 8, v0
	s_waitcnt lgkmcnt(0)
	s_ashr_i32 s5, s2, 31
	s_mov_b32 s4, s2
	v_cmp_neq_f32_e64 s2, s3, 0
	v_cmp_gt_i64_e32 vcc_lo, s[4:5], v[0:1]
	s_delay_alu instid0(VALU_DEP_2) | instskip(NEXT) | instid1(SALU_CYCLE_1)
	s_and_b32 s2, s2, vcc_lo
	s_and_saveexec_b32 s4, s2
	s_cbranch_execz .LBB23_2
; %bb.1:
	s_clause 0x3
	s_load_b128 s[16:19], s[0:1], 0x18
	s_load_b256 s[4:11], s[0:1], 0x28
	s_load_b64 s[12:13], s[0:1], 0x48
	s_load_b64 s[0:1], s[0:1], 0x10
	s_waitcnt lgkmcnt(0)
	v_mad_u64_u32 v[1:2], null, v0, s18, 0
	v_mad_u64_u32 v[3:4], null, v0, s10, 0
	s_mul_i32 s2, s15, s5
	s_mul_hi_u32 s5, s15, s4
	s_mul_i32 s4, s15, s4
	s_add_i32 s5, s5, s2
	s_mul_i32 s13, s15, s13
	s_lshl_b64 s[4:5], s[4:5], 2
	s_delay_alu instid0(VALU_DEP_1)
	v_mad_u64_u32 v[5:6], null, v0, s11, v[4:5]
	v_mad_u64_u32 v[6:7], null, v0, s19, v[2:3]
	s_add_u32 s4, s0, s4
	s_addc_u32 s5, s1, s5
	s_lshl_b64 s[0:1], s[16:17], 2
	s_mul_hi_u32 s2, s15, s12
	s_delay_alu instid0(VALU_DEP_2)
	v_mov_b32_e32 v4, v5
	s_add_u32 s4, s0, s4
	s_mul_i32 s10, s15, s12
	s_addc_u32 s5, s1, s5
	s_add_i32 s11, s2, s13
	v_mov_b32_e32 v2, v6
	s_lshl_b64 s[0:1], s[10:11], 2
	v_lshlrev_b64 v[3:4], 2, v[3:4]
	s_add_u32 s2, s6, s0
	s_addc_u32 s6, s7, s1
	s_lshl_b64 s[0:1], s[8:9], 2
	v_lshlrev_b64 v[0:1], 2, v[1:2]
	s_add_u32 s0, s0, s2
	s_addc_u32 s1, s1, s6
	v_add_co_u32 v2, vcc_lo, s0, v3
	v_add_co_ci_u32_e32 v3, vcc_lo, s1, v4, vcc_lo
	s_delay_alu instid0(VALU_DEP_3)
	v_add_co_u32 v0, vcc_lo, s4, v0
	v_add_co_ci_u32_e32 v1, vcc_lo, s5, v1, vcc_lo
	global_load_b32 v4, v[2:3], off
	global_load_b32 v0, v[0:1], off
	s_waitcnt vmcnt(0)
	v_fmac_f32_e32 v4, s3, v0
	global_store_b32 v[2:3], v4, off
.LBB23_2:
	s_nop 0
	s_sendmsg sendmsg(MSG_DEALLOC_VGPRS)
	s_endpgm
	.section	.rodata,"a",@progbits
	.p2align	6, 0x0
	.amdhsa_kernel _ZL19rocblas_axpy_kernelIlLi256EffPKfPfEviT2_lT3_lT_lT4_lS5_li
		.amdhsa_group_segment_fixed_size 0
		.amdhsa_private_segment_fixed_size 0
		.amdhsa_kernarg_size 84
		.amdhsa_user_sgpr_count 14
		.amdhsa_user_sgpr_dispatch_ptr 0
		.amdhsa_user_sgpr_queue_ptr 0
		.amdhsa_user_sgpr_kernarg_segment_ptr 1
		.amdhsa_user_sgpr_dispatch_id 0
		.amdhsa_user_sgpr_private_segment_size 0
		.amdhsa_wavefront_size32 1
		.amdhsa_uses_dynamic_stack 0
		.amdhsa_enable_private_segment 0
		.amdhsa_system_sgpr_workgroup_id_x 1
		.amdhsa_system_sgpr_workgroup_id_y 0
		.amdhsa_system_sgpr_workgroup_id_z 1
		.amdhsa_system_sgpr_workgroup_info 0
		.amdhsa_system_vgpr_workitem_id 0
		.amdhsa_next_free_vgpr 8
		.amdhsa_next_free_sgpr 20
		.amdhsa_reserve_vcc 1
		.amdhsa_float_round_mode_32 0
		.amdhsa_float_round_mode_16_64 0
		.amdhsa_float_denorm_mode_32 3
		.amdhsa_float_denorm_mode_16_64 3
		.amdhsa_dx10_clamp 1
		.amdhsa_ieee_mode 1
		.amdhsa_fp16_overflow 0
		.amdhsa_workgroup_processor_mode 1
		.amdhsa_memory_ordered 1
		.amdhsa_forward_progress 0
		.amdhsa_shared_vgpr_count 0
		.amdhsa_exception_fp_ieee_invalid_op 0
		.amdhsa_exception_fp_denorm_src 0
		.amdhsa_exception_fp_ieee_div_zero 0
		.amdhsa_exception_fp_ieee_overflow 0
		.amdhsa_exception_fp_ieee_underflow 0
		.amdhsa_exception_fp_ieee_inexact 0
		.amdhsa_exception_int_div_zero 0
	.end_amdhsa_kernel
	.section	.text._ZL19rocblas_axpy_kernelIlLi256EffPKfPfEviT2_lT3_lT_lT4_lS5_li,"axG",@progbits,_ZL19rocblas_axpy_kernelIlLi256EffPKfPfEviT2_lT3_lT_lT4_lS5_li,comdat
.Lfunc_end23:
	.size	_ZL19rocblas_axpy_kernelIlLi256EffPKfPfEviT2_lT3_lT_lT4_lS5_li, .Lfunc_end23-_ZL19rocblas_axpy_kernelIlLi256EffPKfPfEviT2_lT3_lT_lT4_lS5_li
                                        ; -- End function
	.section	.AMDGPU.csdata,"",@progbits
; Kernel info:
; codeLenInByte = 316
; NumSgprs: 22
; NumVgprs: 8
; ScratchSize: 0
; MemoryBound: 0
; FloatMode: 240
; IeeeMode: 1
; LDSByteSize: 0 bytes/workgroup (compile time only)
; SGPRBlocks: 2
; VGPRBlocks: 0
; NumSGPRsForWavesPerEU: 22
; NumVGPRsForWavesPerEU: 8
; Occupancy: 16
; WaveLimiterHint : 0
; COMPUTE_PGM_RSRC2:SCRATCH_EN: 0
; COMPUTE_PGM_RSRC2:USER_SGPR: 14
; COMPUTE_PGM_RSRC2:TRAP_HANDLER: 0
; COMPUTE_PGM_RSRC2:TGID_X_EN: 1
; COMPUTE_PGM_RSRC2:TGID_Y_EN: 0
; COMPUTE_PGM_RSRC2:TGID_Z_EN: 1
; COMPUTE_PGM_RSRC2:TIDIG_COMP_CNT: 0
	.section	.text._ZL26rocblas_haxpy_mlt_8_kernelILi256EPKDF16_PKdPdEviT0_lT1_llT2_lli,"axG",@progbits,_ZL26rocblas_haxpy_mlt_8_kernelILi256EPKDF16_PKdPdEviT0_lT1_llT2_lli,comdat
	.globl	_ZL26rocblas_haxpy_mlt_8_kernelILi256EPKDF16_PKdPdEviT0_lT1_llT2_lli ; -- Begin function _ZL26rocblas_haxpy_mlt_8_kernelILi256EPKDF16_PKdPdEviT0_lT1_llT2_lli
	.p2align	8
	.type	_ZL26rocblas_haxpy_mlt_8_kernelILi256EPKDF16_PKdPdEviT0_lT1_llT2_lli,@function
_ZL26rocblas_haxpy_mlt_8_kernelILi256EPKDF16_PKdPdEviT0_lT1_llT2_lli: ; @_ZL26rocblas_haxpy_mlt_8_kernelILi256EPKDF16_PKdPdEviT0_lT1_llT2_lli
; %bb.0:
	s_load_b512 s[16:31], s[0:1], 0x8
	v_mov_b32_e32 v1, 0
	s_waitcnt lgkmcnt(0)
	s_mul_i32 s3, s15, s19
	s_mul_hi_u32 s4, s15, s18
	s_mul_i32 s2, s15, s18
	s_add_i32 s3, s4, s3
	s_delay_alu instid0(SALU_CYCLE_1) | instskip(NEXT) | instid1(SALU_CYCLE_1)
	s_lshl_b64 s[2:3], s[2:3], 1
	s_add_u32 s2, s16, s2
	s_addc_u32 s3, s17, s3
	global_load_u16 v2, v1, s[2:3]
	s_waitcnt vmcnt(0)
	v_and_b32_e32 v3, 0xffff, v2
	s_delay_alu instid0(VALU_DEP_1) | instskip(NEXT) | instid1(VALU_DEP_1)
	v_lshl_or_b32 v3, v2, 16, v3
	v_and_b32_e32 v3, 0x7fff, v3
	s_delay_alu instid0(VALU_DEP_1)
	v_cmp_eq_u32_e32 vcc_lo, 0, v3
	s_cbranch_vccnz .LBB24_3
; %bb.1:
	s_load_b32 s0, s[0:1], 0x0
	v_lshl_or_b32 v0, s14, 8, v0
	s_delay_alu instid0(VALU_DEP_1)
	v_lshlrev_b64 v[0:1], 3, v[0:1]
	s_waitcnt lgkmcnt(0)
	s_ashr_i32 s1, s0, 31
	s_delay_alu instid0(VALU_DEP_1) | instid1(SALU_CYCLE_1)
	v_cmp_gt_i64_e32 vcc_lo, s[0:1], v[0:1]
	s_and_saveexec_b32 s0, vcc_lo
	s_cbranch_execz .LBB24_3
; %bb.2:
	s_mul_i32 s1, s15, s25
	s_mul_hi_u32 s2, s15, s24
	s_mul_i32 s0, s15, s24
	s_add_i32 s1, s2, s1
	s_mul_i32 s4, s15, s31
	s_lshl_b64 s[0:1], s[0:1], 3
	v_lshlrev_b64 v[0:1], 3, v[0:1]
	s_add_u32 s2, s20, s0
	s_addc_u32 s3, s21, s1
	s_lshl_b64 s[0:1], s[22:23], 3
	s_delay_alu instid0(SALU_CYCLE_1)
	s_add_u32 s2, s0, s2
	s_mul_hi_u32 s0, s15, s30
	s_addc_u32 s3, s1, s3
	s_add_i32 s1, s0, s4
	s_mul_i32 s0, s15, s30
	v_add_co_u32 v3, vcc_lo, s2, v0
	s_lshl_b64 s[0:1], s[0:1], 3
	v_add_co_ci_u32_e32 v4, vcc_lo, s3, v1, vcc_lo
	s_add_u32 s4, s26, s0
	s_addc_u32 s5, s27, s1
	s_lshl_b64 s[0:1], s[28:29], 3
	s_delay_alu instid0(SALU_CYCLE_1)
	s_add_u32 s0, s0, s4
	s_addc_u32 s1, s1, s5
	v_add_co_u32 v0, vcc_lo, s0, v0
	v_add_co_ci_u32_e32 v1, vcc_lo, s1, v1, vcc_lo
	global_load_b128 v[3:6], v[3:4], off
	global_load_b128 v[7:10], v[0:1], off
	s_waitcnt vmcnt(0)
	v_pk_fma_f16 v6, v2, v6, v10 op_sel_hi:[0,1,1]
	v_pk_fma_f16 v5, v2, v5, v9 op_sel_hi:[0,1,1]
	;; [unrolled: 1-line block ×4, first 2 shown]
	global_store_b128 v[0:1], v[3:6], off
.LBB24_3:
	s_nop 0
	s_sendmsg sendmsg(MSG_DEALLOC_VGPRS)
	s_endpgm
	.section	.rodata,"a",@progbits
	.p2align	6, 0x0
	.amdhsa_kernel _ZL26rocblas_haxpy_mlt_8_kernelILi256EPKDF16_PKdPdEviT0_lT1_llT2_lli
		.amdhsa_group_segment_fixed_size 0
		.amdhsa_private_segment_fixed_size 0
		.amdhsa_kernarg_size 76
		.amdhsa_user_sgpr_count 14
		.amdhsa_user_sgpr_dispatch_ptr 0
		.amdhsa_user_sgpr_queue_ptr 0
		.amdhsa_user_sgpr_kernarg_segment_ptr 1
		.amdhsa_user_sgpr_dispatch_id 0
		.amdhsa_user_sgpr_private_segment_size 0
		.amdhsa_wavefront_size32 1
		.amdhsa_uses_dynamic_stack 0
		.amdhsa_enable_private_segment 0
		.amdhsa_system_sgpr_workgroup_id_x 1
		.amdhsa_system_sgpr_workgroup_id_y 0
		.amdhsa_system_sgpr_workgroup_id_z 1
		.amdhsa_system_sgpr_workgroup_info 0
		.amdhsa_system_vgpr_workitem_id 0
		.amdhsa_next_free_vgpr 11
		.amdhsa_next_free_sgpr 32
		.amdhsa_reserve_vcc 1
		.amdhsa_float_round_mode_32 0
		.amdhsa_float_round_mode_16_64 0
		.amdhsa_float_denorm_mode_32 3
		.amdhsa_float_denorm_mode_16_64 3
		.amdhsa_dx10_clamp 1
		.amdhsa_ieee_mode 1
		.amdhsa_fp16_overflow 0
		.amdhsa_workgroup_processor_mode 1
		.amdhsa_memory_ordered 1
		.amdhsa_forward_progress 0
		.amdhsa_shared_vgpr_count 0
		.amdhsa_exception_fp_ieee_invalid_op 0
		.amdhsa_exception_fp_denorm_src 0
		.amdhsa_exception_fp_ieee_div_zero 0
		.amdhsa_exception_fp_ieee_overflow 0
		.amdhsa_exception_fp_ieee_underflow 0
		.amdhsa_exception_fp_ieee_inexact 0
		.amdhsa_exception_int_div_zero 0
	.end_amdhsa_kernel
	.section	.text._ZL26rocblas_haxpy_mlt_8_kernelILi256EPKDF16_PKdPdEviT0_lT1_llT2_lli,"axG",@progbits,_ZL26rocblas_haxpy_mlt_8_kernelILi256EPKDF16_PKdPdEviT0_lT1_llT2_lli,comdat
.Lfunc_end24:
	.size	_ZL26rocblas_haxpy_mlt_8_kernelILi256EPKDF16_PKdPdEviT0_lT1_llT2_lli, .Lfunc_end24-_ZL26rocblas_haxpy_mlt_8_kernelILi256EPKDF16_PKdPdEviT0_lT1_llT2_lli
                                        ; -- End function
	.section	.AMDGPU.csdata,"",@progbits
; Kernel info:
; codeLenInByte = 344
; NumSgprs: 34
; NumVgprs: 11
; ScratchSize: 0
; MemoryBound: 0
; FloatMode: 240
; IeeeMode: 1
; LDSByteSize: 0 bytes/workgroup (compile time only)
; SGPRBlocks: 4
; VGPRBlocks: 1
; NumSGPRsForWavesPerEU: 34
; NumVGPRsForWavesPerEU: 11
; Occupancy: 16
; WaveLimiterHint : 0
; COMPUTE_PGM_RSRC2:SCRATCH_EN: 0
; COMPUTE_PGM_RSRC2:USER_SGPR: 14
; COMPUTE_PGM_RSRC2:TRAP_HANDLER: 0
; COMPUTE_PGM_RSRC2:TGID_X_EN: 1
; COMPUTE_PGM_RSRC2:TGID_Y_EN: 0
; COMPUTE_PGM_RSRC2:TGID_Z_EN: 1
; COMPUTE_PGM_RSRC2:TIDIG_COMP_CNT: 0
	.section	.text._ZL26rocblas_haxpy_mod_8_kernelILi256EPKdS1_PdEviT0_lT1_llT2_lli,"axG",@progbits,_ZL26rocblas_haxpy_mod_8_kernelILi256EPKdS1_PdEviT0_lT1_llT2_lli,comdat
	.globl	_ZL26rocblas_haxpy_mod_8_kernelILi256EPKdS1_PdEviT0_lT1_llT2_lli ; -- Begin function _ZL26rocblas_haxpy_mod_8_kernelILi256EPKdS1_PdEviT0_lT1_llT2_lli
	.p2align	8
	.type	_ZL26rocblas_haxpy_mod_8_kernelILi256EPKdS1_PdEviT0_lT1_llT2_lli,@function
_ZL26rocblas_haxpy_mod_8_kernelILi256EPKdS1_PdEviT0_lT1_llT2_lli: ; @_ZL26rocblas_haxpy_mod_8_kernelILi256EPKdS1_PdEviT0_lT1_llT2_lli
; %bb.0:
	s_clause 0x1
	s_load_b512 s[16:31], s[0:1], 0x8
	s_load_b32 s2, s[0:1], 0x0
	v_lshl_or_b32 v0, s14, 8, v0
	v_mov_b32_e32 v1, 0
	s_waitcnt lgkmcnt(0)
	s_mul_i32 s0, s15, s19
	s_mul_hi_u32 s1, s15, s18
	s_ashr_i32 s3, s2, 31
	s_add_i32 s1, s1, s0
	s_mul_i32 s0, s15, s18
	v_cmp_gt_i64_e32 vcc_lo, s[2:3], v[0:1]
	s_lshl_b64 s[0:1], s[0:1], 3
	s_delay_alu instid0(SALU_CYCLE_1) | instskip(SKIP_4) | instid1(VALU_DEP_1)
	s_add_u32 s0, s16, s0
	s_addc_u32 s1, s17, s1
	s_load_b64 s[0:1], s[0:1], 0x0
	s_waitcnt lgkmcnt(0)
	v_cmp_neq_f64_e64 s4, s[0:1], 0
	s_and_b32 s2, vcc_lo, s4
	s_delay_alu instid0(SALU_CYCLE_1)
	s_and_saveexec_b32 s3, s2
	s_cbranch_execz .LBB25_2
; %bb.1:
	s_mul_i32 s3, s15, s25
	s_mul_hi_u32 s4, s15, s24
	s_mul_i32 s2, s15, s24
	s_add_i32 s3, s4, s3
	s_mul_i32 s6, s15, s31
	s_lshl_b64 s[2:3], s[2:3], 3
	v_lshlrev_b64 v[0:1], 3, v[0:1]
	s_add_u32 s4, s20, s2
	s_addc_u32 s5, s21, s3
	s_lshl_b64 s[2:3], s[22:23], 3
	s_delay_alu instid0(SALU_CYCLE_1)
	s_add_u32 s4, s2, s4
	s_mul_hi_u32 s2, s15, s30
	s_addc_u32 s5, s3, s5
	s_add_i32 s3, s2, s6
	s_mul_i32 s2, s15, s30
	v_add_co_u32 v2, vcc_lo, s4, v0
	s_lshl_b64 s[2:3], s[2:3], 3
	v_add_co_ci_u32_e32 v3, vcc_lo, s5, v1, vcc_lo
	s_add_u32 s6, s26, s2
	s_addc_u32 s7, s27, s3
	s_lshl_b64 s[2:3], s[28:29], 3
	s_delay_alu instid0(SALU_CYCLE_1)
	s_add_u32 s2, s2, s6
	s_addc_u32 s3, s3, s7
	v_add_co_u32 v0, vcc_lo, s2, v0
	v_add_co_ci_u32_e32 v1, vcc_lo, s3, v1, vcc_lo
	global_load_b64 v[2:3], v[2:3], off
	global_load_b64 v[4:5], v[0:1], off
	s_waitcnt vmcnt(0)
	v_fma_f64 v[2:3], s[0:1], v[2:3], v[4:5]
	global_store_b64 v[0:1], v[2:3], off
.LBB25_2:
	s_nop 0
	s_sendmsg sendmsg(MSG_DEALLOC_VGPRS)
	s_endpgm
	.section	.rodata,"a",@progbits
	.p2align	6, 0x0
	.amdhsa_kernel _ZL26rocblas_haxpy_mod_8_kernelILi256EPKdS1_PdEviT0_lT1_llT2_lli
		.amdhsa_group_segment_fixed_size 0
		.amdhsa_private_segment_fixed_size 0
		.amdhsa_kernarg_size 76
		.amdhsa_user_sgpr_count 14
		.amdhsa_user_sgpr_dispatch_ptr 0
		.amdhsa_user_sgpr_queue_ptr 0
		.amdhsa_user_sgpr_kernarg_segment_ptr 1
		.amdhsa_user_sgpr_dispatch_id 0
		.amdhsa_user_sgpr_private_segment_size 0
		.amdhsa_wavefront_size32 1
		.amdhsa_uses_dynamic_stack 0
		.amdhsa_enable_private_segment 0
		.amdhsa_system_sgpr_workgroup_id_x 1
		.amdhsa_system_sgpr_workgroup_id_y 0
		.amdhsa_system_sgpr_workgroup_id_z 1
		.amdhsa_system_sgpr_workgroup_info 0
		.amdhsa_system_vgpr_workitem_id 0
		.amdhsa_next_free_vgpr 6
		.amdhsa_next_free_sgpr 32
		.amdhsa_reserve_vcc 1
		.amdhsa_float_round_mode_32 0
		.amdhsa_float_round_mode_16_64 0
		.amdhsa_float_denorm_mode_32 3
		.amdhsa_float_denorm_mode_16_64 3
		.amdhsa_dx10_clamp 1
		.amdhsa_ieee_mode 1
		.amdhsa_fp16_overflow 0
		.amdhsa_workgroup_processor_mode 1
		.amdhsa_memory_ordered 1
		.amdhsa_forward_progress 0
		.amdhsa_shared_vgpr_count 0
		.amdhsa_exception_fp_ieee_invalid_op 0
		.amdhsa_exception_fp_denorm_src 0
		.amdhsa_exception_fp_ieee_div_zero 0
		.amdhsa_exception_fp_ieee_overflow 0
		.amdhsa_exception_fp_ieee_underflow 0
		.amdhsa_exception_fp_ieee_inexact 0
		.amdhsa_exception_int_div_zero 0
	.end_amdhsa_kernel
	.section	.text._ZL26rocblas_haxpy_mod_8_kernelILi256EPKdS1_PdEviT0_lT1_llT2_lli,"axG",@progbits,_ZL26rocblas_haxpy_mod_8_kernelILi256EPKdS1_PdEviT0_lT1_llT2_lli,comdat
.Lfunc_end25:
	.size	_ZL26rocblas_haxpy_mod_8_kernelILi256EPKdS1_PdEviT0_lT1_llT2_lli, .Lfunc_end25-_ZL26rocblas_haxpy_mod_8_kernelILi256EPKdS1_PdEviT0_lT1_llT2_lli
                                        ; -- End function
	.section	.AMDGPU.csdata,"",@progbits
; Kernel info:
; codeLenInByte = 280
; NumSgprs: 34
; NumVgprs: 6
; ScratchSize: 0
; MemoryBound: 0
; FloatMode: 240
; IeeeMode: 1
; LDSByteSize: 0 bytes/workgroup (compile time only)
; SGPRBlocks: 4
; VGPRBlocks: 0
; NumSGPRsForWavesPerEU: 34
; NumVGPRsForWavesPerEU: 6
; Occupancy: 16
; WaveLimiterHint : 0
; COMPUTE_PGM_RSRC2:SCRATCH_EN: 0
; COMPUTE_PGM_RSRC2:USER_SGPR: 14
; COMPUTE_PGM_RSRC2:TRAP_HANDLER: 0
; COMPUTE_PGM_RSRC2:TGID_X_EN: 1
; COMPUTE_PGM_RSRC2:TGID_Y_EN: 0
; COMPUTE_PGM_RSRC2:TGID_Z_EN: 1
; COMPUTE_PGM_RSRC2:TIDIG_COMP_CNT: 0
	.section	.text._ZL26rocblas_haxpy_mlt_8_kernelILi256EDF16_PKdPdEviT0_lT1_llT2_lli,"axG",@progbits,_ZL26rocblas_haxpy_mlt_8_kernelILi256EDF16_PKdPdEviT0_lT1_llT2_lli,comdat
	.globl	_ZL26rocblas_haxpy_mlt_8_kernelILi256EDF16_PKdPdEviT0_lT1_llT2_lli ; -- Begin function _ZL26rocblas_haxpy_mlt_8_kernelILi256EDF16_PKdPdEviT0_lT1_llT2_lli
	.p2align	8
	.type	_ZL26rocblas_haxpy_mlt_8_kernelILi256EDF16_PKdPdEviT0_lT1_llT2_lli,@function
_ZL26rocblas_haxpy_mlt_8_kernelILi256EDF16_PKdPdEviT0_lT1_llT2_lli: ; @_ZL26rocblas_haxpy_mlt_8_kernelILi256EDF16_PKdPdEviT0_lT1_llT2_lli
; %bb.0:
	s_load_b64 s[2:3], s[0:1], 0x0
	s_waitcnt lgkmcnt(0)
	s_pack_ll_b32_b16 s4, s3, s3
	s_delay_alu instid0(SALU_CYCLE_1) | instskip(NEXT) | instid1(SALU_CYCLE_1)
	s_and_b32 s4, s4, 0x7fff
	s_cmp_eq_u32 s4, 0
	s_cbranch_scc1 .LBB26_3
; %bb.1:
	v_lshl_or_b32 v0, s14, 8, v0
	v_mov_b32_e32 v1, 0
	s_ashr_i32 s5, s2, 31
	s_mov_b32 s4, s2
	s_mov_b32 s2, exec_lo
	s_delay_alu instid0(VALU_DEP_1) | instskip(NEXT) | instid1(VALU_DEP_1)
	v_lshlrev_b64 v[0:1], 3, v[0:1]
	v_cmpx_gt_i64_e64 s[4:5], v[0:1]
	s_cbranch_execz .LBB26_3
; %bb.2:
	s_clause 0x1
	s_load_b256 s[4:11], s[0:1], 0x10
	s_load_b128 s[16:19], s[0:1], 0x30
	v_lshlrev_b64 v[0:1], 3, v[0:1]
	s_waitcnt lgkmcnt(0)
	s_mul_i32 s1, s15, s9
	s_mul_hi_u32 s2, s15, s8
	s_mul_i32 s0, s15, s8
	s_add_i32 s1, s2, s1
	s_mul_i32 s2, s15, s19
	s_lshl_b64 s[0:1], s[0:1], 3
	s_mul_hi_u32 s8, s15, s18
	s_add_u32 s9, s4, s0
	s_addc_u32 s5, s5, s1
	s_lshl_b64 s[0:1], s[6:7], 3
	s_mul_i32 s4, s15, s18
	s_add_u32 s6, s0, s9
	s_addc_u32 s7, s1, s5
	s_add_i32 s5, s8, s2
	v_add_co_u32 v2, vcc_lo, s6, v0
	s_lshl_b64 s[0:1], s[4:5], 3
	v_add_co_ci_u32_e32 v3, vcc_lo, s7, v1, vcc_lo
	s_add_u32 s2, s10, s0
	s_addc_u32 s4, s11, s1
	s_lshl_b64 s[0:1], s[16:17], 3
	s_delay_alu instid0(SALU_CYCLE_1)
	s_add_u32 s0, s0, s2
	s_addc_u32 s1, s1, s4
	v_add_co_u32 v8, vcc_lo, s0, v0
	v_add_co_ci_u32_e32 v9, vcc_lo, s1, v1, vcc_lo
	global_load_b128 v[0:3], v[2:3], off
	global_load_b128 v[4:7], v[8:9], off
	s_waitcnt vmcnt(0)
	v_pk_fma_f16 v3, s3, v3, v7 op_sel_hi:[0,1,1]
	v_pk_fma_f16 v2, s3, v2, v6 op_sel_hi:[0,1,1]
	;; [unrolled: 1-line block ×4, first 2 shown]
	global_store_b128 v[8:9], v[0:3], off
.LBB26_3:
	s_nop 0
	s_sendmsg sendmsg(MSG_DEALLOC_VGPRS)
	s_endpgm
	.section	.rodata,"a",@progbits
	.p2align	6, 0x0
	.amdhsa_kernel _ZL26rocblas_haxpy_mlt_8_kernelILi256EDF16_PKdPdEviT0_lT1_llT2_lli
		.amdhsa_group_segment_fixed_size 0
		.amdhsa_private_segment_fixed_size 0
		.amdhsa_kernarg_size 68
		.amdhsa_user_sgpr_count 14
		.amdhsa_user_sgpr_dispatch_ptr 0
		.amdhsa_user_sgpr_queue_ptr 0
		.amdhsa_user_sgpr_kernarg_segment_ptr 1
		.amdhsa_user_sgpr_dispatch_id 0
		.amdhsa_user_sgpr_private_segment_size 0
		.amdhsa_wavefront_size32 1
		.amdhsa_uses_dynamic_stack 0
		.amdhsa_enable_private_segment 0
		.amdhsa_system_sgpr_workgroup_id_x 1
		.amdhsa_system_sgpr_workgroup_id_y 0
		.amdhsa_system_sgpr_workgroup_id_z 1
		.amdhsa_system_sgpr_workgroup_info 0
		.amdhsa_system_vgpr_workitem_id 0
		.amdhsa_next_free_vgpr 10
		.amdhsa_next_free_sgpr 20
		.amdhsa_reserve_vcc 1
		.amdhsa_float_round_mode_32 0
		.amdhsa_float_round_mode_16_64 0
		.amdhsa_float_denorm_mode_32 3
		.amdhsa_float_denorm_mode_16_64 3
		.amdhsa_dx10_clamp 1
		.amdhsa_ieee_mode 1
		.amdhsa_fp16_overflow 0
		.amdhsa_workgroup_processor_mode 1
		.amdhsa_memory_ordered 1
		.amdhsa_forward_progress 0
		.amdhsa_shared_vgpr_count 0
		.amdhsa_exception_fp_ieee_invalid_op 0
		.amdhsa_exception_fp_denorm_src 0
		.amdhsa_exception_fp_ieee_div_zero 0
		.amdhsa_exception_fp_ieee_overflow 0
		.amdhsa_exception_fp_ieee_underflow 0
		.amdhsa_exception_fp_ieee_inexact 0
		.amdhsa_exception_int_div_zero 0
	.end_amdhsa_kernel
	.section	.text._ZL26rocblas_haxpy_mlt_8_kernelILi256EDF16_PKdPdEviT0_lT1_llT2_lli,"axG",@progbits,_ZL26rocblas_haxpy_mlt_8_kernelILi256EDF16_PKdPdEviT0_lT1_llT2_lli,comdat
.Lfunc_end26:
	.size	_ZL26rocblas_haxpy_mlt_8_kernelILi256EDF16_PKdPdEviT0_lT1_llT2_lli, .Lfunc_end26-_ZL26rocblas_haxpy_mlt_8_kernelILi256EDF16_PKdPdEviT0_lT1_llT2_lli
                                        ; -- End function
	.section	.AMDGPU.csdata,"",@progbits
; Kernel info:
; codeLenInByte = 296
; NumSgprs: 22
; NumVgprs: 10
; ScratchSize: 0
; MemoryBound: 0
; FloatMode: 240
; IeeeMode: 1
; LDSByteSize: 0 bytes/workgroup (compile time only)
; SGPRBlocks: 2
; VGPRBlocks: 1
; NumSGPRsForWavesPerEU: 22
; NumVGPRsForWavesPerEU: 10
; Occupancy: 16
; WaveLimiterHint : 0
; COMPUTE_PGM_RSRC2:SCRATCH_EN: 0
; COMPUTE_PGM_RSRC2:USER_SGPR: 14
; COMPUTE_PGM_RSRC2:TRAP_HANDLER: 0
; COMPUTE_PGM_RSRC2:TGID_X_EN: 1
; COMPUTE_PGM_RSRC2:TGID_Y_EN: 0
; COMPUTE_PGM_RSRC2:TGID_Z_EN: 1
; COMPUTE_PGM_RSRC2:TIDIG_COMP_CNT: 0
	.section	.text._ZL26rocblas_haxpy_mod_8_kernelILi256EdPKdPdEviT0_lT1_llT2_lli,"axG",@progbits,_ZL26rocblas_haxpy_mod_8_kernelILi256EdPKdPdEviT0_lT1_llT2_lli,comdat
	.globl	_ZL26rocblas_haxpy_mod_8_kernelILi256EdPKdPdEviT0_lT1_llT2_lli ; -- Begin function _ZL26rocblas_haxpy_mod_8_kernelILi256EdPKdPdEviT0_lT1_llT2_lli
	.p2align	8
	.type	_ZL26rocblas_haxpy_mod_8_kernelILi256EdPKdPdEviT0_lT1_llT2_lli,@function
_ZL26rocblas_haxpy_mod_8_kernelILi256EdPKdPdEviT0_lT1_llT2_lli: ; @_ZL26rocblas_haxpy_mod_8_kernelILi256EdPKdPdEviT0_lT1_llT2_lli
; %bb.0:
	s_clause 0x1
	s_load_b64 s[2:3], s[0:1], 0x8
	s_load_b32 s4, s[0:1], 0x0
	v_lshl_or_b32 v0, s14, 8, v0
	v_mov_b32_e32 v1, 0
	s_waitcnt lgkmcnt(0)
	v_cmp_neq_f64_e64 s6, s[2:3], 0
	s_ashr_i32 s5, s4, 31
	s_delay_alu instid0(VALU_DEP_2) | instid1(SALU_CYCLE_1)
	v_cmp_gt_i64_e32 vcc_lo, s[4:5], v[0:1]
	s_delay_alu instid0(VALU_DEP_2) | instskip(NEXT) | instid1(SALU_CYCLE_1)
	s_and_b32 s4, s6, vcc_lo
	s_and_saveexec_b32 s5, s4
	s_cbranch_execz .LBB27_2
; %bb.1:
	s_clause 0x1
	s_load_b256 s[4:11], s[0:1], 0x18
	s_load_b128 s[16:19], s[0:1], 0x38
	v_lshlrev_b64 v[0:1], 3, v[0:1]
	s_waitcnt lgkmcnt(0)
	s_mul_i32 s1, s15, s9
	s_mul_hi_u32 s9, s15, s8
	s_mul_i32 s0, s15, s8
	s_add_i32 s1, s9, s1
	s_mul_i32 s8, s15, s19
	s_lshl_b64 s[0:1], s[0:1], 3
	s_mul_hi_u32 s9, s15, s18
	s_add_u32 s12, s4, s0
	s_addc_u32 s5, s5, s1
	s_lshl_b64 s[0:1], s[6:7], 3
	s_mul_i32 s4, s15, s18
	s_add_u32 s6, s0, s12
	s_addc_u32 s7, s1, s5
	s_add_i32 s5, s9, s8
	v_add_co_u32 v2, vcc_lo, s6, v0
	s_lshl_b64 s[0:1], s[4:5], 3
	v_add_co_ci_u32_e32 v3, vcc_lo, s7, v1, vcc_lo
	s_add_u32 s4, s10, s0
	s_addc_u32 s5, s11, s1
	s_lshl_b64 s[0:1], s[16:17], 3
	s_delay_alu instid0(SALU_CYCLE_1)
	s_add_u32 s0, s0, s4
	s_addc_u32 s1, s1, s5
	v_add_co_u32 v0, vcc_lo, s0, v0
	v_add_co_ci_u32_e32 v1, vcc_lo, s1, v1, vcc_lo
	global_load_b64 v[2:3], v[2:3], off
	global_load_b64 v[4:5], v[0:1], off
	s_waitcnt vmcnt(0)
	v_fma_f64 v[2:3], v[2:3], s[2:3], v[4:5]
	global_store_b64 v[0:1], v[2:3], off
.LBB27_2:
	s_nop 0
	s_sendmsg sendmsg(MSG_DEALLOC_VGPRS)
	s_endpgm
	.section	.rodata,"a",@progbits
	.p2align	6, 0x0
	.amdhsa_kernel _ZL26rocblas_haxpy_mod_8_kernelILi256EdPKdPdEviT0_lT1_llT2_lli
		.amdhsa_group_segment_fixed_size 0
		.amdhsa_private_segment_fixed_size 0
		.amdhsa_kernarg_size 76
		.amdhsa_user_sgpr_count 14
		.amdhsa_user_sgpr_dispatch_ptr 0
		.amdhsa_user_sgpr_queue_ptr 0
		.amdhsa_user_sgpr_kernarg_segment_ptr 1
		.amdhsa_user_sgpr_dispatch_id 0
		.amdhsa_user_sgpr_private_segment_size 0
		.amdhsa_wavefront_size32 1
		.amdhsa_uses_dynamic_stack 0
		.amdhsa_enable_private_segment 0
		.amdhsa_system_sgpr_workgroup_id_x 1
		.amdhsa_system_sgpr_workgroup_id_y 0
		.amdhsa_system_sgpr_workgroup_id_z 1
		.amdhsa_system_sgpr_workgroup_info 0
		.amdhsa_system_vgpr_workitem_id 0
		.amdhsa_next_free_vgpr 6
		.amdhsa_next_free_sgpr 20
		.amdhsa_reserve_vcc 1
		.amdhsa_float_round_mode_32 0
		.amdhsa_float_round_mode_16_64 0
		.amdhsa_float_denorm_mode_32 3
		.amdhsa_float_denorm_mode_16_64 3
		.amdhsa_dx10_clamp 1
		.amdhsa_ieee_mode 1
		.amdhsa_fp16_overflow 0
		.amdhsa_workgroup_processor_mode 1
		.amdhsa_memory_ordered 1
		.amdhsa_forward_progress 0
		.amdhsa_shared_vgpr_count 0
		.amdhsa_exception_fp_ieee_invalid_op 0
		.amdhsa_exception_fp_denorm_src 0
		.amdhsa_exception_fp_ieee_div_zero 0
		.amdhsa_exception_fp_ieee_overflow 0
		.amdhsa_exception_fp_ieee_underflow 0
		.amdhsa_exception_fp_ieee_inexact 0
		.amdhsa_exception_int_div_zero 0
	.end_amdhsa_kernel
	.section	.text._ZL26rocblas_haxpy_mod_8_kernelILi256EdPKdPdEviT0_lT1_llT2_lli,"axG",@progbits,_ZL26rocblas_haxpy_mod_8_kernelILi256EdPKdPdEviT0_lT1_llT2_lli,comdat
.Lfunc_end27:
	.size	_ZL26rocblas_haxpy_mod_8_kernelILi256EdPKdPdEviT0_lT1_llT2_lli, .Lfunc_end27-_ZL26rocblas_haxpy_mod_8_kernelILi256EdPKdPdEviT0_lT1_llT2_lli
                                        ; -- End function
	.section	.AMDGPU.csdata,"",@progbits
; Kernel info:
; codeLenInByte = 260
; NumSgprs: 22
; NumVgprs: 6
; ScratchSize: 0
; MemoryBound: 0
; FloatMode: 240
; IeeeMode: 1
; LDSByteSize: 0 bytes/workgroup (compile time only)
; SGPRBlocks: 2
; VGPRBlocks: 0
; NumSGPRsForWavesPerEU: 22
; NumVGPRsForWavesPerEU: 6
; Occupancy: 16
; WaveLimiterHint : 0
; COMPUTE_PGM_RSRC2:SCRATCH_EN: 0
; COMPUTE_PGM_RSRC2:USER_SGPR: 14
; COMPUTE_PGM_RSRC2:TRAP_HANDLER: 0
; COMPUTE_PGM_RSRC2:TGID_X_EN: 1
; COMPUTE_PGM_RSRC2:TGID_Y_EN: 0
; COMPUTE_PGM_RSRC2:TGID_Z_EN: 1
; COMPUTE_PGM_RSRC2:TIDIG_COMP_CNT: 0
	.section	.text._ZL22rocblas_saxpy_2_kernelILi256EdPKdS1_PdEviT1_lT2_llT3_lli,"axG",@progbits,_ZL22rocblas_saxpy_2_kernelILi256EdPKdS1_PdEviT1_lT2_llT3_lli,comdat
	.globl	_ZL22rocblas_saxpy_2_kernelILi256EdPKdS1_PdEviT1_lT2_llT3_lli ; -- Begin function _ZL22rocblas_saxpy_2_kernelILi256EdPKdS1_PdEviT1_lT2_llT3_lli
	.p2align	8
	.type	_ZL22rocblas_saxpy_2_kernelILi256EdPKdS1_PdEviT1_lT2_llT3_lli,@function
_ZL22rocblas_saxpy_2_kernelILi256EdPKdS1_PdEviT1_lT2_llT3_lli: ; @_ZL22rocblas_saxpy_2_kernelILi256EdPKdS1_PdEviT1_lT2_llT3_lli
; %bb.0:
	s_load_b128 s[4:7], s[0:1], 0x8
	s_waitcnt lgkmcnt(0)
	s_mul_i32 s2, s15, s7
	s_mul_hi_u32 s3, s15, s6
	s_delay_alu instid0(SALU_CYCLE_1) | instskip(SKIP_1) | instid1(SALU_CYCLE_1)
	s_add_i32 s3, s3, s2
	s_mul_i32 s2, s15, s6
	s_lshl_b64 s[2:3], s[2:3], 3
	s_delay_alu instid0(SALU_CYCLE_1) | instskip(SKIP_4) | instid1(VALU_DEP_1)
	s_add_u32 s2, s4, s2
	s_addc_u32 s3, s5, s3
	s_load_b64 s[2:3], s[2:3], 0x0
	s_waitcnt lgkmcnt(0)
	v_cmp_eq_f64_e64 s4, s[2:3], 0
	s_and_b32 vcc_lo, exec_lo, s4
	s_cbranch_vccnz .LBB28_5
; %bb.1:
	s_clause 0x4
	s_load_b128 s[8:11], s[0:1], 0x20
	s_load_b128 s[16:19], s[0:1], 0x38
	s_load_b64 s[6:7], s[0:1], 0x18
	s_load_b64 s[12:13], s[0:1], 0x30
	s_load_b32 s4, s[0:1], 0x0
	v_dual_mov_b32 v3, 0 :: v_dual_lshlrev_b32 v0, 1, v0
	s_delay_alu instid0(VALU_DEP_1) | instskip(NEXT) | instid1(VALU_DEP_1)
	v_lshl_or_b32 v2, s14, 9, v0
	v_lshlrev_b64 v[0:1], 3, v[2:3]
	s_waitcnt lgkmcnt(0)
	s_mul_i32 s1, s15, s11
	s_mul_hi_u32 s5, s15, s10
	s_mul_i32 s0, s15, s10
	s_add_i32 s1, s5, s1
	s_mul_i32 s10, s15, s19
	s_lshl_b64 s[0:1], s[0:1], 3
	s_mul_hi_u32 s11, s15, s18
	s_add_u32 s5, s6, s0
	s_addc_u32 s6, s7, s1
	s_lshl_b64 s[0:1], s[8:9], 3
	s_mul_i32 s8, s15, s18
	s_add_u32 s5, s5, s0
	s_addc_u32 s6, s6, s1
	s_add_i32 s9, s11, s10
	s_delay_alu instid0(SALU_CYCLE_1) | instskip(SKIP_4) | instid1(SALU_CYCLE_1)
	s_lshl_b64 s[0:1], s[8:9], 3
	s_mov_b32 s9, exec_lo
	s_add_u32 s7, s12, s0
	s_addc_u32 s8, s13, s1
	s_lshl_b64 s[0:1], s[16:17], 3
	s_add_u32 s7, s7, s0
	s_addc_u32 s8, s8, s1
	s_add_i32 s0, s4, -1
	s_delay_alu instid0(SALU_CYCLE_1) | instskip(NEXT) | instid1(SALU_CYCLE_1)
	s_ashr_i32 s1, s0, 31
	v_cmpx_gt_i64_e64 s[0:1], v[2:3]
	s_cbranch_execz .LBB28_3
; %bb.2:
	v_add_co_u32 v12, vcc_lo, s7, v0
	v_add_co_ci_u32_e32 v13, vcc_lo, s8, v1, vcc_lo
	v_add_co_u32 v8, vcc_lo, s5, v0
	v_add_co_ci_u32_e32 v9, vcc_lo, s6, v1, vcc_lo
	global_load_b128 v[4:7], v[12:13], off
	global_load_b128 v[8:11], v[8:9], off
	s_waitcnt vmcnt(0)
	v_fma_f64 v[4:5], s[2:3], v[8:9], v[4:5]
	v_fma_f64 v[6:7], s[2:3], v[10:11], v[6:7]
	global_store_b128 v[12:13], v[4:7], off
.LBB28_3:
	s_or_b32 exec_lo, exec_lo, s9
	v_cmp_eq_u64_e32 vcc_lo, s[0:1], v[2:3]
	s_bitcmp1_b32 s4, 0
	s_cselect_b32 s0, -1, 0
	s_delay_alu instid0(SALU_CYCLE_1) | instskip(NEXT) | instid1(SALU_CYCLE_1)
	s_and_b32 s0, s0, vcc_lo
	s_and_saveexec_b32 s1, s0
	s_cbranch_execz .LBB28_5
; %bb.4:
	v_add_co_u32 v2, vcc_lo, s7, v0
	v_add_co_ci_u32_e32 v3, vcc_lo, s8, v1, vcc_lo
	v_add_co_u32 v0, vcc_lo, s5, v0
	v_add_co_ci_u32_e32 v1, vcc_lo, s6, v1, vcc_lo
	global_load_b64 v[4:5], v[2:3], off
	global_load_b64 v[0:1], v[0:1], off
	s_waitcnt vmcnt(0)
	v_fma_f64 v[0:1], s[2:3], v[0:1], v[4:5]
	global_store_b64 v[2:3], v[0:1], off
.LBB28_5:
	s_nop 0
	s_sendmsg sendmsg(MSG_DEALLOC_VGPRS)
	s_endpgm
	.section	.rodata,"a",@progbits
	.p2align	6, 0x0
	.amdhsa_kernel _ZL22rocblas_saxpy_2_kernelILi256EdPKdS1_PdEviT1_lT2_llT3_lli
		.amdhsa_group_segment_fixed_size 0
		.amdhsa_private_segment_fixed_size 0
		.amdhsa_kernarg_size 76
		.amdhsa_user_sgpr_count 14
		.amdhsa_user_sgpr_dispatch_ptr 0
		.amdhsa_user_sgpr_queue_ptr 0
		.amdhsa_user_sgpr_kernarg_segment_ptr 1
		.amdhsa_user_sgpr_dispatch_id 0
		.amdhsa_user_sgpr_private_segment_size 0
		.amdhsa_wavefront_size32 1
		.amdhsa_uses_dynamic_stack 0
		.amdhsa_enable_private_segment 0
		.amdhsa_system_sgpr_workgroup_id_x 1
		.amdhsa_system_sgpr_workgroup_id_y 0
		.amdhsa_system_sgpr_workgroup_id_z 1
		.amdhsa_system_sgpr_workgroup_info 0
		.amdhsa_system_vgpr_workitem_id 0
		.amdhsa_next_free_vgpr 14
		.amdhsa_next_free_sgpr 20
		.amdhsa_reserve_vcc 1
		.amdhsa_float_round_mode_32 0
		.amdhsa_float_round_mode_16_64 0
		.amdhsa_float_denorm_mode_32 3
		.amdhsa_float_denorm_mode_16_64 3
		.amdhsa_dx10_clamp 1
		.amdhsa_ieee_mode 1
		.amdhsa_fp16_overflow 0
		.amdhsa_workgroup_processor_mode 1
		.amdhsa_memory_ordered 1
		.amdhsa_forward_progress 0
		.amdhsa_shared_vgpr_count 0
		.amdhsa_exception_fp_ieee_invalid_op 0
		.amdhsa_exception_fp_denorm_src 0
		.amdhsa_exception_fp_ieee_div_zero 0
		.amdhsa_exception_fp_ieee_overflow 0
		.amdhsa_exception_fp_ieee_underflow 0
		.amdhsa_exception_fp_ieee_inexact 0
		.amdhsa_exception_int_div_zero 0
	.end_amdhsa_kernel
	.section	.text._ZL22rocblas_saxpy_2_kernelILi256EdPKdS1_PdEviT1_lT2_llT3_lli,"axG",@progbits,_ZL22rocblas_saxpy_2_kernelILi256EdPKdS1_PdEviT1_lT2_llT3_lli,comdat
.Lfunc_end28:
	.size	_ZL22rocblas_saxpy_2_kernelILi256EdPKdS1_PdEviT1_lT2_llT3_lli, .Lfunc_end28-_ZL22rocblas_saxpy_2_kernelILi256EdPKdS1_PdEviT1_lT2_llT3_lli
                                        ; -- End function
	.section	.AMDGPU.csdata,"",@progbits
; Kernel info:
; codeLenInByte = 436
; NumSgprs: 22
; NumVgprs: 14
; ScratchSize: 0
; MemoryBound: 0
; FloatMode: 240
; IeeeMode: 1
; LDSByteSize: 0 bytes/workgroup (compile time only)
; SGPRBlocks: 2
; VGPRBlocks: 1
; NumSGPRsForWavesPerEU: 22
; NumVGPRsForWavesPerEU: 14
; Occupancy: 16
; WaveLimiterHint : 0
; COMPUTE_PGM_RSRC2:SCRATCH_EN: 0
; COMPUTE_PGM_RSRC2:USER_SGPR: 14
; COMPUTE_PGM_RSRC2:TRAP_HANDLER: 0
; COMPUTE_PGM_RSRC2:TGID_X_EN: 1
; COMPUTE_PGM_RSRC2:TGID_Y_EN: 0
; COMPUTE_PGM_RSRC2:TGID_Z_EN: 1
; COMPUTE_PGM_RSRC2:TIDIG_COMP_CNT: 0
	.section	.text._ZL22rocblas_saxpy_2_kernelILi256EddPKdPdEviT1_lT2_llT3_lli,"axG",@progbits,_ZL22rocblas_saxpy_2_kernelILi256EddPKdPdEviT1_lT2_llT3_lli,comdat
	.globl	_ZL22rocblas_saxpy_2_kernelILi256EddPKdPdEviT1_lT2_llT3_lli ; -- Begin function _ZL22rocblas_saxpy_2_kernelILi256EddPKdPdEviT1_lT2_llT3_lli
	.p2align	8
	.type	_ZL22rocblas_saxpy_2_kernelILi256EddPKdPdEviT1_lT2_llT3_lli,@function
_ZL22rocblas_saxpy_2_kernelILi256EddPKdPdEviT1_lT2_llT3_lli: ; @_ZL22rocblas_saxpy_2_kernelILi256EddPKdPdEviT1_lT2_llT3_lli
; %bb.0:
	s_load_b64 s[2:3], s[0:1], 0x8
	s_waitcnt lgkmcnt(0)
	v_cmp_eq_f64_e64 s4, s[2:3], 0
	s_delay_alu instid0(VALU_DEP_1)
	s_and_b32 vcc_lo, exec_lo, s4
	s_cbranch_vccnz .LBB29_5
; %bb.1:
	s_clause 0x4
	s_load_b128 s[8:11], s[0:1], 0x20
	s_load_b128 s[16:19], s[0:1], 0x38
	s_load_b64 s[6:7], s[0:1], 0x18
	s_load_b64 s[12:13], s[0:1], 0x30
	s_load_b32 s4, s[0:1], 0x0
	v_dual_mov_b32 v3, 0 :: v_dual_lshlrev_b32 v0, 1, v0
	s_delay_alu instid0(VALU_DEP_1) | instskip(NEXT) | instid1(VALU_DEP_1)
	v_lshl_or_b32 v2, s14, 9, v0
	v_lshlrev_b64 v[0:1], 3, v[2:3]
	s_waitcnt lgkmcnt(0)
	s_mul_i32 s1, s15, s11
	s_mul_hi_u32 s5, s15, s10
	s_mul_i32 s0, s15, s10
	s_add_i32 s1, s5, s1
	s_mul_i32 s10, s15, s19
	s_lshl_b64 s[0:1], s[0:1], 3
	s_mul_hi_u32 s11, s15, s18
	s_add_u32 s5, s6, s0
	s_addc_u32 s6, s7, s1
	s_lshl_b64 s[0:1], s[8:9], 3
	s_mul_i32 s8, s15, s18
	s_add_u32 s5, s5, s0
	s_addc_u32 s6, s6, s1
	s_add_i32 s9, s11, s10
	s_delay_alu instid0(SALU_CYCLE_1) | instskip(SKIP_4) | instid1(SALU_CYCLE_1)
	s_lshl_b64 s[0:1], s[8:9], 3
	s_mov_b32 s9, exec_lo
	s_add_u32 s7, s12, s0
	s_addc_u32 s8, s13, s1
	s_lshl_b64 s[0:1], s[16:17], 3
	s_add_u32 s7, s7, s0
	s_addc_u32 s8, s8, s1
	s_add_i32 s0, s4, -1
	s_delay_alu instid0(SALU_CYCLE_1) | instskip(NEXT) | instid1(SALU_CYCLE_1)
	s_ashr_i32 s1, s0, 31
	v_cmpx_gt_i64_e64 s[0:1], v[2:3]
	s_cbranch_execz .LBB29_3
; %bb.2:
	v_add_co_u32 v12, vcc_lo, s7, v0
	v_add_co_ci_u32_e32 v13, vcc_lo, s8, v1, vcc_lo
	v_add_co_u32 v8, vcc_lo, s5, v0
	v_add_co_ci_u32_e32 v9, vcc_lo, s6, v1, vcc_lo
	global_load_b128 v[4:7], v[12:13], off
	global_load_b128 v[8:11], v[8:9], off
	s_waitcnt vmcnt(0)
	v_fma_f64 v[4:5], v[8:9], s[2:3], v[4:5]
	v_fma_f64 v[6:7], v[10:11], s[2:3], v[6:7]
	global_store_b128 v[12:13], v[4:7], off
.LBB29_3:
	s_or_b32 exec_lo, exec_lo, s9
	v_cmp_eq_u64_e32 vcc_lo, s[0:1], v[2:3]
	s_bitcmp1_b32 s4, 0
	s_cselect_b32 s0, -1, 0
	s_delay_alu instid0(SALU_CYCLE_1) | instskip(NEXT) | instid1(SALU_CYCLE_1)
	s_and_b32 s0, s0, vcc_lo
	s_and_saveexec_b32 s1, s0
	s_cbranch_execz .LBB29_5
; %bb.4:
	v_add_co_u32 v2, vcc_lo, s7, v0
	v_add_co_ci_u32_e32 v3, vcc_lo, s8, v1, vcc_lo
	v_add_co_u32 v0, vcc_lo, s5, v0
	v_add_co_ci_u32_e32 v1, vcc_lo, s6, v1, vcc_lo
	global_load_b64 v[4:5], v[2:3], off
	global_load_b64 v[0:1], v[0:1], off
	s_waitcnt vmcnt(0)
	v_fma_f64 v[0:1], v[0:1], s[2:3], v[4:5]
	global_store_b64 v[2:3], v[0:1], off
.LBB29_5:
	s_nop 0
	s_sendmsg sendmsg(MSG_DEALLOC_VGPRS)
	s_endpgm
	.section	.rodata,"a",@progbits
	.p2align	6, 0x0
	.amdhsa_kernel _ZL22rocblas_saxpy_2_kernelILi256EddPKdPdEviT1_lT2_llT3_lli
		.amdhsa_group_segment_fixed_size 0
		.amdhsa_private_segment_fixed_size 0
		.amdhsa_kernarg_size 76
		.amdhsa_user_sgpr_count 14
		.amdhsa_user_sgpr_dispatch_ptr 0
		.amdhsa_user_sgpr_queue_ptr 0
		.amdhsa_user_sgpr_kernarg_segment_ptr 1
		.amdhsa_user_sgpr_dispatch_id 0
		.amdhsa_user_sgpr_private_segment_size 0
		.amdhsa_wavefront_size32 1
		.amdhsa_uses_dynamic_stack 0
		.amdhsa_enable_private_segment 0
		.amdhsa_system_sgpr_workgroup_id_x 1
		.amdhsa_system_sgpr_workgroup_id_y 0
		.amdhsa_system_sgpr_workgroup_id_z 1
		.amdhsa_system_sgpr_workgroup_info 0
		.amdhsa_system_vgpr_workitem_id 0
		.amdhsa_next_free_vgpr 14
		.amdhsa_next_free_sgpr 20
		.amdhsa_reserve_vcc 1
		.amdhsa_float_round_mode_32 0
		.amdhsa_float_round_mode_16_64 0
		.amdhsa_float_denorm_mode_32 3
		.amdhsa_float_denorm_mode_16_64 3
		.amdhsa_dx10_clamp 1
		.amdhsa_ieee_mode 1
		.amdhsa_fp16_overflow 0
		.amdhsa_workgroup_processor_mode 1
		.amdhsa_memory_ordered 1
		.amdhsa_forward_progress 0
		.amdhsa_shared_vgpr_count 0
		.amdhsa_exception_fp_ieee_invalid_op 0
		.amdhsa_exception_fp_denorm_src 0
		.amdhsa_exception_fp_ieee_div_zero 0
		.amdhsa_exception_fp_ieee_overflow 0
		.amdhsa_exception_fp_ieee_underflow 0
		.amdhsa_exception_fp_ieee_inexact 0
		.amdhsa_exception_int_div_zero 0
	.end_amdhsa_kernel
	.section	.text._ZL22rocblas_saxpy_2_kernelILi256EddPKdPdEviT1_lT2_llT3_lli,"axG",@progbits,_ZL22rocblas_saxpy_2_kernelILi256EddPKdPdEviT1_lT2_llT3_lli,comdat
.Lfunc_end29:
	.size	_ZL22rocblas_saxpy_2_kernelILi256EddPKdPdEviT1_lT2_llT3_lli, .Lfunc_end29-_ZL22rocblas_saxpy_2_kernelILi256EddPKdPdEviT1_lT2_llT3_lli
                                        ; -- End function
	.section	.AMDGPU.csdata,"",@progbits
; Kernel info:
; codeLenInByte = 392
; NumSgprs: 22
; NumVgprs: 14
; ScratchSize: 0
; MemoryBound: 0
; FloatMode: 240
; IeeeMode: 1
; LDSByteSize: 0 bytes/workgroup (compile time only)
; SGPRBlocks: 2
; VGPRBlocks: 1
; NumSGPRsForWavesPerEU: 22
; NumVGPRsForWavesPerEU: 14
; Occupancy: 16
; WaveLimiterHint : 0
; COMPUTE_PGM_RSRC2:SCRATCH_EN: 0
; COMPUTE_PGM_RSRC2:USER_SGPR: 14
; COMPUTE_PGM_RSRC2:TRAP_HANDLER: 0
; COMPUTE_PGM_RSRC2:TGID_X_EN: 1
; COMPUTE_PGM_RSRC2:TGID_Y_EN: 0
; COMPUTE_PGM_RSRC2:TGID_Z_EN: 1
; COMPUTE_PGM_RSRC2:TIDIG_COMP_CNT: 0
	.section	.text._ZL27rocblas_axpy_kernel_batchedIiLi128ELi8EdPKdS1_PdEviT3_lT4_lT_lT5_lS5_li,"axG",@progbits,_ZL27rocblas_axpy_kernel_batchedIiLi128ELi8EdPKdS1_PdEviT3_lT4_lT_lT5_lS5_li,comdat
	.globl	_ZL27rocblas_axpy_kernel_batchedIiLi128ELi8EdPKdS1_PdEviT3_lT4_lT_lT5_lS5_li ; -- Begin function _ZL27rocblas_axpy_kernel_batchedIiLi128ELi8EdPKdS1_PdEviT3_lT4_lT_lT5_lS5_li
	.p2align	8
	.type	_ZL27rocblas_axpy_kernel_batchedIiLi128ELi8EdPKdS1_PdEviT3_lT4_lT_lT5_lS5_li,@function
_ZL27rocblas_axpy_kernel_batchedIiLi128ELi8EdPKdS1_PdEviT3_lT4_lT_lT5_lS5_li: ; @_ZL27rocblas_axpy_kernel_batchedIiLi128ELi8EdPKdS1_PdEviT3_lT4_lT_lT5_lS5_li
; %bb.0:
	s_load_b32 s2, s[0:1], 0x0
	v_dual_mov_b32 v2, 0 :: v_dual_and_b32 v1, 0x3ff, v0
	s_delay_alu instid0(VALU_DEP_1)
	v_lshl_add_u32 v1, s14, 7, v1
	s_waitcnt lgkmcnt(0)
	s_ashr_i32 s3, s2, 31
	s_delay_alu instid0(VALU_DEP_1) | instid1(SALU_CYCLE_1)
	v_cmp_gt_i64_e32 vcc_lo, s[2:3], v[1:2]
	s_and_saveexec_b32 s2, vcc_lo
	s_cbranch_execz .LBB30_13
; %bb.1:
	s_clause 0x6
	s_load_b32 s13, s[0:1], 0x28
	s_load_b32 s14, s[0:1], 0x48
	s_load_b256 s[4:11], s[0:1], 0x8
	s_load_b128 s[16:19], s[0:1], 0x30
	s_load_b64 s[2:3], s[0:1], 0x50
	s_load_b32 s12, s[0:1], 0x58
	s_load_b64 s[0:1], s[0:1], 0x40
	v_bfe_u32 v0, v0, 10, 10
	s_waitcnt lgkmcnt(0)
	v_mad_u64_u32 v[2:3], null, s13, v1, 0
	v_mad_u64_u32 v[4:5], null, s14, v1, 0
	s_ashr_i32 s13, s13, 31
	s_lshl_b64 s[10:11], s[10:11], 3
	s_delay_alu instid0(VALU_DEP_1) | instskip(SKIP_4) | instid1(SALU_CYCLE_1)
	v_mad_u64_u32 v[6:7], null, s13, v1, v[3:4]
	s_ashr_i32 s13, s14, 31
	s_add_u32 s8, s10, s8
	s_addc_u32 s9, s11, s9
	s_lshl_b64 s[0:1], s[0:1], 3
	s_add_u32 s0, s0, s18
	s_delay_alu instid0(VALU_DEP_1) | instskip(SKIP_2) | instid1(VALU_DEP_1)
	v_mad_u64_u32 v[7:8], null, s13, v1, v[5:6]
	v_dual_mov_b32 v3, v6 :: v_dual_lshlrev_b32 v8, 2, v0
	s_addc_u32 s1, s1, s19
	v_lshl_add_u32 v6, s15, 5, v8
	s_delay_alu instid0(VALU_DEP_3) | instskip(NEXT) | instid1(VALU_DEP_3)
	v_mov_b32_e32 v5, v7
	v_lshlrev_b64 v[0:1], 3, v[2:3]
	s_delay_alu instid0(VALU_DEP_2) | instskip(NEXT) | instid1(VALU_DEP_2)
	v_lshlrev_b64 v[4:5], 3, v[4:5]
	v_add_co_u32 v2, vcc_lo, s8, v0
	s_delay_alu instid0(VALU_DEP_3) | instskip(NEXT) | instid1(VALU_DEP_3)
	v_add_co_ci_u32_e32 v3, vcc_lo, s9, v1, vcc_lo
	v_add_co_u32 v4, vcc_lo, s0, v4
	s_delay_alu instid0(VALU_DEP_4)
	v_add_co_ci_u32_e32 v5, vcc_lo, s1, v5, vcc_lo
	s_mov_b32 s0, exec_lo
	v_cmpx_gt_u32_e64 s12, v6
	s_cbranch_execz .LBB30_4
; %bb.2:
	v_mad_u64_u32 v[0:1], null, v6, s6, 0
	s_delay_alu instid0(VALU_DEP_1) | instskip(NEXT) | instid1(VALU_DEP_1)
	v_mad_u64_u32 v[7:8], null, v6, s7, v[1:2]
	v_mov_b32_e32 v1, v7
	s_delay_alu instid0(VALU_DEP_1) | instskip(NEXT) | instid1(VALU_DEP_1)
	v_lshlrev_b64 v[0:1], 3, v[0:1]
	v_add_co_u32 v0, vcc_lo, s4, v0
	s_delay_alu instid0(VALU_DEP_2)
	v_add_co_ci_u32_e32 v1, vcc_lo, s5, v1, vcc_lo
	global_load_b64 v[0:1], v[0:1], off
	s_waitcnt vmcnt(0)
	v_cmp_neq_f64_e32 vcc_lo, 0, v[0:1]
	s_and_b32 exec_lo, exec_lo, vcc_lo
	s_cbranch_execz .LBB30_4
; %bb.3:
	v_mad_u64_u32 v[7:8], null, v6, s2, 0
	v_mad_u64_u32 v[9:10], null, v6, s16, 0
	s_delay_alu instid0(VALU_DEP_1) | instskip(NEXT) | instid1(VALU_DEP_1)
	v_mad_u64_u32 v[11:12], null, v6, s3, v[8:9]
	v_mad_u64_u32 v[12:13], null, v6, s17, v[10:11]
	v_mov_b32_e32 v8, v11
	s_delay_alu instid0(VALU_DEP_1) | instskip(NEXT) | instid1(VALU_DEP_3)
	v_lshlrev_b64 v[7:8], 3, v[7:8]
	v_mov_b32_e32 v10, v12
	s_delay_alu instid0(VALU_DEP_2) | instskip(NEXT) | instid1(VALU_DEP_2)
	v_add_co_u32 v7, vcc_lo, v4, v7
	v_lshlrev_b64 v[9:10], 3, v[9:10]
	s_delay_alu instid0(VALU_DEP_4) | instskip(NEXT) | instid1(VALU_DEP_2)
	v_add_co_ci_u32_e32 v8, vcc_lo, v5, v8, vcc_lo
	v_add_co_u32 v9, vcc_lo, v2, v9
	s_delay_alu instid0(VALU_DEP_3)
	v_add_co_ci_u32_e32 v10, vcc_lo, v3, v10, vcc_lo
	global_load_b64 v[11:12], v[7:8], off
	global_load_b64 v[9:10], v[9:10], off
	s_waitcnt vmcnt(0)
	v_fma_f64 v[0:1], v[0:1], v[9:10], v[11:12]
	global_store_b64 v[7:8], v[0:1], off
.LBB30_4:
	s_or_b32 exec_lo, exec_lo, s0
	v_or_b32_e32 v7, 1, v6
	s_mov_b32 s0, exec_lo
	s_delay_alu instid0(VALU_DEP_1)
	v_cmpx_gt_u32_e64 s12, v7
	s_cbranch_execz .LBB30_7
; %bb.5:
	v_mad_u64_u32 v[0:1], null, v7, s6, 0
	s_delay_alu instid0(VALU_DEP_1) | instskip(NEXT) | instid1(VALU_DEP_1)
	v_mad_u64_u32 v[8:9], null, v7, s7, v[1:2]
	v_mov_b32_e32 v1, v8
	s_delay_alu instid0(VALU_DEP_1) | instskip(NEXT) | instid1(VALU_DEP_1)
	v_lshlrev_b64 v[0:1], 3, v[0:1]
	v_add_co_u32 v0, vcc_lo, s4, v0
	s_delay_alu instid0(VALU_DEP_2)
	v_add_co_ci_u32_e32 v1, vcc_lo, s5, v1, vcc_lo
	global_load_b64 v[0:1], v[0:1], off
	s_waitcnt vmcnt(0)
	v_cmp_neq_f64_e32 vcc_lo, 0, v[0:1]
	s_and_b32 exec_lo, exec_lo, vcc_lo
	s_cbranch_execz .LBB30_7
; %bb.6:
	v_mad_u64_u32 v[8:9], null, v7, s2, 0
	v_mad_u64_u32 v[10:11], null, v7, s16, 0
	s_delay_alu instid0(VALU_DEP_1) | instskip(NEXT) | instid1(VALU_DEP_1)
	v_mad_u64_u32 v[12:13], null, v7, s3, v[9:10]
	v_mad_u64_u32 v[13:14], null, v7, s17, v[11:12]
	v_mov_b32_e32 v9, v12
	s_delay_alu instid0(VALU_DEP_1) | instskip(NEXT) | instid1(VALU_DEP_3)
	v_lshlrev_b64 v[7:8], 3, v[8:9]
	v_mov_b32_e32 v11, v13
	s_delay_alu instid0(VALU_DEP_2) | instskip(NEXT) | instid1(VALU_DEP_2)
	v_add_co_u32 v7, vcc_lo, v4, v7
	v_lshlrev_b64 v[9:10], 3, v[10:11]
	s_delay_alu instid0(VALU_DEP_4) | instskip(NEXT) | instid1(VALU_DEP_2)
	v_add_co_ci_u32_e32 v8, vcc_lo, v5, v8, vcc_lo
	v_add_co_u32 v9, vcc_lo, v2, v9
	s_delay_alu instid0(VALU_DEP_3)
	v_add_co_ci_u32_e32 v10, vcc_lo, v3, v10, vcc_lo
	global_load_b64 v[11:12], v[7:8], off
	global_load_b64 v[9:10], v[9:10], off
	s_waitcnt vmcnt(0)
	v_fma_f64 v[0:1], v[0:1], v[9:10], v[11:12]
	global_store_b64 v[7:8], v[0:1], off
.LBB30_7:
	s_or_b32 exec_lo, exec_lo, s0
	v_or_b32_e32 v7, 2, v6
	s_mov_b32 s0, exec_lo
	s_delay_alu instid0(VALU_DEP_1)
	v_cmpx_gt_u32_e64 s12, v7
	s_cbranch_execz .LBB30_10
; %bb.8:
	v_mad_u64_u32 v[0:1], null, v7, s6, 0
	s_delay_alu instid0(VALU_DEP_1) | instskip(NEXT) | instid1(VALU_DEP_1)
	v_mad_u64_u32 v[8:9], null, v7, s7, v[1:2]
	v_mov_b32_e32 v1, v8
	s_delay_alu instid0(VALU_DEP_1) | instskip(NEXT) | instid1(VALU_DEP_1)
	v_lshlrev_b64 v[0:1], 3, v[0:1]
	v_add_co_u32 v0, vcc_lo, s4, v0
	s_delay_alu instid0(VALU_DEP_2)
	v_add_co_ci_u32_e32 v1, vcc_lo, s5, v1, vcc_lo
	global_load_b64 v[0:1], v[0:1], off
	s_waitcnt vmcnt(0)
	v_cmp_neq_f64_e32 vcc_lo, 0, v[0:1]
	s_and_b32 exec_lo, exec_lo, vcc_lo
	s_cbranch_execz .LBB30_10
; %bb.9:
	v_mad_u64_u32 v[8:9], null, v7, s2, 0
	v_mad_u64_u32 v[10:11], null, v7, s16, 0
	s_delay_alu instid0(VALU_DEP_1) | instskip(NEXT) | instid1(VALU_DEP_1)
	v_mad_u64_u32 v[12:13], null, v7, s3, v[9:10]
	v_mad_u64_u32 v[13:14], null, v7, s17, v[11:12]
	v_mov_b32_e32 v9, v12
	s_delay_alu instid0(VALU_DEP_1) | instskip(NEXT) | instid1(VALU_DEP_3)
	v_lshlrev_b64 v[7:8], 3, v[8:9]
	v_mov_b32_e32 v11, v13
	s_delay_alu instid0(VALU_DEP_2) | instskip(NEXT) | instid1(VALU_DEP_2)
	v_add_co_u32 v7, vcc_lo, v4, v7
	v_lshlrev_b64 v[9:10], 3, v[10:11]
	s_delay_alu instid0(VALU_DEP_4) | instskip(NEXT) | instid1(VALU_DEP_2)
	v_add_co_ci_u32_e32 v8, vcc_lo, v5, v8, vcc_lo
	v_add_co_u32 v9, vcc_lo, v2, v9
	s_delay_alu instid0(VALU_DEP_3)
	v_add_co_ci_u32_e32 v10, vcc_lo, v3, v10, vcc_lo
	global_load_b64 v[11:12], v[7:8], off
	global_load_b64 v[9:10], v[9:10], off
	s_waitcnt vmcnt(0)
	v_fma_f64 v[0:1], v[0:1], v[9:10], v[11:12]
	global_store_b64 v[7:8], v[0:1], off
.LBB30_10:
	s_or_b32 exec_lo, exec_lo, s0
	v_or_b32_e32 v6, 3, v6
	s_delay_alu instid0(VALU_DEP_1)
	v_cmp_gt_u32_e32 vcc_lo, s12, v6
	s_and_b32 exec_lo, exec_lo, vcc_lo
	s_cbranch_execz .LBB30_13
; %bb.11:
	v_mad_u64_u32 v[0:1], null, v6, s6, 0
	s_delay_alu instid0(VALU_DEP_1) | instskip(NEXT) | instid1(VALU_DEP_1)
	v_mad_u64_u32 v[7:8], null, v6, s7, v[1:2]
	v_mov_b32_e32 v1, v7
	s_delay_alu instid0(VALU_DEP_1) | instskip(NEXT) | instid1(VALU_DEP_1)
	v_lshlrev_b64 v[0:1], 3, v[0:1]
	v_add_co_u32 v0, vcc_lo, s4, v0
	s_delay_alu instid0(VALU_DEP_2)
	v_add_co_ci_u32_e32 v1, vcc_lo, s5, v1, vcc_lo
	global_load_b64 v[0:1], v[0:1], off
	s_waitcnt vmcnt(0)
	v_cmp_neq_f64_e32 vcc_lo, 0, v[0:1]
	s_and_b32 exec_lo, exec_lo, vcc_lo
	s_cbranch_execz .LBB30_13
; %bb.12:
	v_mad_u64_u32 v[7:8], null, v6, s2, 0
	v_mad_u64_u32 v[9:10], null, v6, s16, 0
	s_delay_alu instid0(VALU_DEP_1) | instskip(NEXT) | instid1(VALU_DEP_1)
	v_mad_u64_u32 v[11:12], null, v6, s3, v[8:9]
	v_mad_u64_u32 v[12:13], null, v6, s17, v[10:11]
	v_mov_b32_e32 v8, v11
	s_delay_alu instid0(VALU_DEP_1) | instskip(NEXT) | instid1(VALU_DEP_3)
	v_lshlrev_b64 v[6:7], 3, v[7:8]
	v_mov_b32_e32 v10, v12
	s_delay_alu instid0(VALU_DEP_2) | instskip(NEXT) | instid1(VALU_DEP_2)
	v_add_co_u32 v4, vcc_lo, v4, v6
	v_lshlrev_b64 v[8:9], 3, v[9:10]
	s_delay_alu instid0(VALU_DEP_4) | instskip(NEXT) | instid1(VALU_DEP_2)
	v_add_co_ci_u32_e32 v5, vcc_lo, v5, v7, vcc_lo
	v_add_co_u32 v2, vcc_lo, v2, v8
	s_delay_alu instid0(VALU_DEP_3)
	v_add_co_ci_u32_e32 v3, vcc_lo, v3, v9, vcc_lo
	global_load_b64 v[6:7], v[4:5], off
	global_load_b64 v[2:3], v[2:3], off
	s_waitcnt vmcnt(0)
	v_fma_f64 v[0:1], v[0:1], v[2:3], v[6:7]
	global_store_b64 v[4:5], v[0:1], off
.LBB30_13:
	s_nop 0
	s_sendmsg sendmsg(MSG_DEALLOC_VGPRS)
	s_endpgm
	.section	.rodata,"a",@progbits
	.p2align	6, 0x0
	.amdhsa_kernel _ZL27rocblas_axpy_kernel_batchedIiLi128ELi8EdPKdS1_PdEviT3_lT4_lT_lT5_lS5_li
		.amdhsa_group_segment_fixed_size 0
		.amdhsa_private_segment_fixed_size 0
		.amdhsa_kernarg_size 92
		.amdhsa_user_sgpr_count 14
		.amdhsa_user_sgpr_dispatch_ptr 0
		.amdhsa_user_sgpr_queue_ptr 0
		.amdhsa_user_sgpr_kernarg_segment_ptr 1
		.amdhsa_user_sgpr_dispatch_id 0
		.amdhsa_user_sgpr_private_segment_size 0
		.amdhsa_wavefront_size32 1
		.amdhsa_uses_dynamic_stack 0
		.amdhsa_enable_private_segment 0
		.amdhsa_system_sgpr_workgroup_id_x 1
		.amdhsa_system_sgpr_workgroup_id_y 0
		.amdhsa_system_sgpr_workgroup_id_z 1
		.amdhsa_system_sgpr_workgroup_info 0
		.amdhsa_system_vgpr_workitem_id 1
		.amdhsa_next_free_vgpr 15
		.amdhsa_next_free_sgpr 20
		.amdhsa_reserve_vcc 1
		.amdhsa_float_round_mode_32 0
		.amdhsa_float_round_mode_16_64 0
		.amdhsa_float_denorm_mode_32 3
		.amdhsa_float_denorm_mode_16_64 3
		.amdhsa_dx10_clamp 1
		.amdhsa_ieee_mode 1
		.amdhsa_fp16_overflow 0
		.amdhsa_workgroup_processor_mode 1
		.amdhsa_memory_ordered 1
		.amdhsa_forward_progress 0
		.amdhsa_shared_vgpr_count 0
		.amdhsa_exception_fp_ieee_invalid_op 0
		.amdhsa_exception_fp_denorm_src 0
		.amdhsa_exception_fp_ieee_div_zero 0
		.amdhsa_exception_fp_ieee_overflow 0
		.amdhsa_exception_fp_ieee_underflow 0
		.amdhsa_exception_fp_ieee_inexact 0
		.amdhsa_exception_int_div_zero 0
	.end_amdhsa_kernel
	.section	.text._ZL27rocblas_axpy_kernel_batchedIiLi128ELi8EdPKdS1_PdEviT3_lT4_lT_lT5_lS5_li,"axG",@progbits,_ZL27rocblas_axpy_kernel_batchedIiLi128ELi8EdPKdS1_PdEviT3_lT4_lT_lT5_lS5_li,comdat
.Lfunc_end30:
	.size	_ZL27rocblas_axpy_kernel_batchedIiLi128ELi8EdPKdS1_PdEviT3_lT4_lT_lT5_lS5_li, .Lfunc_end30-_ZL27rocblas_axpy_kernel_batchedIiLi128ELi8EdPKdS1_PdEviT3_lT4_lT_lT5_lS5_li
                                        ; -- End function
	.section	.AMDGPU.csdata,"",@progbits
; Kernel info:
; codeLenInByte = 1232
; NumSgprs: 22
; NumVgprs: 15
; ScratchSize: 0
; MemoryBound: 0
; FloatMode: 240
; IeeeMode: 1
; LDSByteSize: 0 bytes/workgroup (compile time only)
; SGPRBlocks: 2
; VGPRBlocks: 1
; NumSGPRsForWavesPerEU: 22
; NumVGPRsForWavesPerEU: 15
; Occupancy: 16
; WaveLimiterHint : 0
; COMPUTE_PGM_RSRC2:SCRATCH_EN: 0
; COMPUTE_PGM_RSRC2:USER_SGPR: 14
; COMPUTE_PGM_RSRC2:TRAP_HANDLER: 0
; COMPUTE_PGM_RSRC2:TGID_X_EN: 1
; COMPUTE_PGM_RSRC2:TGID_Y_EN: 0
; COMPUTE_PGM_RSRC2:TGID_Z_EN: 1
; COMPUTE_PGM_RSRC2:TIDIG_COMP_CNT: 1
	.section	.text._ZL27rocblas_axpy_kernel_batchedIiLi128ELi8EddPKdPdEviT3_lT4_lT_lT5_lS5_li,"axG",@progbits,_ZL27rocblas_axpy_kernel_batchedIiLi128ELi8EddPKdPdEviT3_lT4_lT_lT5_lS5_li,comdat
	.globl	_ZL27rocblas_axpy_kernel_batchedIiLi128ELi8EddPKdPdEviT3_lT4_lT_lT5_lS5_li ; -- Begin function _ZL27rocblas_axpy_kernel_batchedIiLi128ELi8EddPKdPdEviT3_lT4_lT_lT5_lS5_li
	.p2align	8
	.type	_ZL27rocblas_axpy_kernel_batchedIiLi128ELi8EddPKdPdEviT3_lT4_lT_lT5_lS5_li,@function
_ZL27rocblas_axpy_kernel_batchedIiLi128ELi8EddPKdPdEviT3_lT4_lT_lT5_lS5_li: ; @_ZL27rocblas_axpy_kernel_batchedIiLi128ELi8EddPKdPdEviT3_lT4_lT_lT5_lS5_li
; %bb.0:
	s_load_b32 s2, s[0:1], 0x0
	v_dual_mov_b32 v2, 0 :: v_dual_and_b32 v1, 0x3ff, v0
	s_delay_alu instid0(VALU_DEP_1)
	v_lshl_add_u32 v1, s14, 7, v1
	s_waitcnt lgkmcnt(0)
	s_ashr_i32 s3, s2, 31
	s_delay_alu instid0(VALU_DEP_1) | instid1(SALU_CYCLE_1)
	v_cmp_gt_i64_e32 vcc_lo, s[2:3], v[1:2]
	s_and_saveexec_b32 s2, vcc_lo
	s_cbranch_execz .LBB31_9
; %bb.1:
	s_clause 0x6
	s_load_b32 s12, s[0:1], 0x28
	s_load_b32 s13, s[0:1], 0x48
	s_load_b64 s[2:3], s[0:1], 0x8
	s_load_b128 s[16:19], s[0:1], 0x18
	s_load_b128 s[4:7], s[0:1], 0x30
	s_load_b64 s[8:9], s[0:1], 0x50
	s_load_b32 s10, s[0:1], 0x58
	v_bfe_u32 v4, v0, 10, 10
	s_load_b64 s[0:1], s[0:1], 0x40
	s_waitcnt lgkmcnt(0)
	v_mad_u64_u32 v[2:3], null, s12, v1, 0
	v_cmp_neq_f64_e64 s11, s[2:3], 0
	v_mad_u64_u32 v[5:6], null, s13, v1, 0
	s_ashr_i32 s12, s12, 31
	s_delay_alu instid0(VALU_DEP_1) | instskip(NEXT) | instid1(VALU_DEP_4)
	v_mov_b32_e32 v0, v6
	v_mad_u64_u32 v[6:7], null, s12, v1, v[3:4]
	v_lshlrev_b32_e32 v3, 2, v4
	s_ashr_i32 s12, s13, 31
	s_delay_alu instid0(VALU_DEP_3) | instid1(SALU_CYCLE_1)
	v_mad_u64_u32 v[7:8], null, s12, v1, v[0:1]
	s_delay_alu instid0(VALU_DEP_2) | instskip(NEXT) | instid1(VALU_DEP_4)
	v_lshl_add_u32 v4, s15, 5, v3
	v_mov_b32_e32 v3, v6
	s_lshl_b64 s[12:13], s[18:19], 3
	s_delay_alu instid0(SALU_CYCLE_1) | instskip(SKIP_1) | instid1(VALU_DEP_3)
	s_add_u32 s12, s12, s16
	s_addc_u32 s13, s13, s17
	v_mov_b32_e32 v6, v7
	v_lshlrev_b64 v[0:1], 3, v[2:3]
	s_lshl_b64 s[0:1], s[0:1], 3
	v_cmp_gt_u32_e32 vcc_lo, s10, v4
	s_add_u32 s6, s0, s6
	v_lshlrev_b64 v[2:3], 3, v[5:6]
	s_addc_u32 s1, s1, s7
	v_add_co_u32 v0, s0, s12, v0
	s_delay_alu instid0(VALU_DEP_1) | instskip(NEXT) | instid1(VALU_DEP_3)
	v_add_co_ci_u32_e64 v1, s0, s13, v1, s0
	v_add_co_u32 v2, s0, s6, v2
	s_delay_alu instid0(VALU_DEP_1) | instskip(SKIP_1) | instid1(SALU_CYCLE_1)
	v_add_co_ci_u32_e64 v3, s0, s1, v3, s0
	s_and_b32 s1, s11, vcc_lo
	s_and_saveexec_b32 s0, s1
	s_cbranch_execz .LBB31_3
; %bb.2:
	v_mad_u64_u32 v[5:6], null, v4, s8, 0
	v_mad_u64_u32 v[7:8], null, v4, s4, 0
	s_delay_alu instid0(VALU_DEP_1) | instskip(NEXT) | instid1(VALU_DEP_1)
	v_mad_u64_u32 v[9:10], null, v4, s9, v[6:7]
	v_mad_u64_u32 v[10:11], null, v4, s5, v[8:9]
	v_mov_b32_e32 v6, v9
	s_delay_alu instid0(VALU_DEP_1) | instskip(NEXT) | instid1(VALU_DEP_3)
	v_lshlrev_b64 v[5:6], 3, v[5:6]
	v_mov_b32_e32 v8, v10
	s_delay_alu instid0(VALU_DEP_2) | instskip(NEXT) | instid1(VALU_DEP_2)
	v_add_co_u32 v5, vcc_lo, v2, v5
	v_lshlrev_b64 v[7:8], 3, v[7:8]
	s_delay_alu instid0(VALU_DEP_4) | instskip(NEXT) | instid1(VALU_DEP_2)
	v_add_co_ci_u32_e32 v6, vcc_lo, v3, v6, vcc_lo
	v_add_co_u32 v7, vcc_lo, v0, v7
	s_delay_alu instid0(VALU_DEP_3)
	v_add_co_ci_u32_e32 v8, vcc_lo, v1, v8, vcc_lo
	global_load_b64 v[9:10], v[5:6], off
	global_load_b64 v[7:8], v[7:8], off
	s_waitcnt vmcnt(0)
	v_fma_f64 v[7:8], v[7:8], s[2:3], v[9:10]
	global_store_b64 v[5:6], v[7:8], off
.LBB31_3:
	s_or_b32 exec_lo, exec_lo, s0
	v_or_b32_e32 v5, 1, v4
	s_delay_alu instid0(VALU_DEP_1) | instskip(SKIP_1) | instid1(SALU_CYCLE_1)
	v_cmp_gt_u32_e32 vcc_lo, s10, v5
	s_and_b32 s1, s11, vcc_lo
	s_and_saveexec_b32 s0, s1
	s_cbranch_execz .LBB31_5
; %bb.4:
	v_mad_u64_u32 v[6:7], null, v5, s8, 0
	v_mad_u64_u32 v[8:9], null, v5, s4, 0
	s_delay_alu instid0(VALU_DEP_1) | instskip(NEXT) | instid1(VALU_DEP_1)
	v_mad_u64_u32 v[10:11], null, v5, s9, v[7:8]
	v_mad_u64_u32 v[11:12], null, v5, s5, v[9:10]
	v_mov_b32_e32 v7, v10
	s_delay_alu instid0(VALU_DEP_1) | instskip(NEXT) | instid1(VALU_DEP_3)
	v_lshlrev_b64 v[5:6], 3, v[6:7]
	v_mov_b32_e32 v9, v11
	s_delay_alu instid0(VALU_DEP_2) | instskip(NEXT) | instid1(VALU_DEP_2)
	v_add_co_u32 v5, vcc_lo, v2, v5
	v_lshlrev_b64 v[7:8], 3, v[8:9]
	s_delay_alu instid0(VALU_DEP_4) | instskip(NEXT) | instid1(VALU_DEP_2)
	v_add_co_ci_u32_e32 v6, vcc_lo, v3, v6, vcc_lo
	v_add_co_u32 v7, vcc_lo, v0, v7
	s_delay_alu instid0(VALU_DEP_3)
	v_add_co_ci_u32_e32 v8, vcc_lo, v1, v8, vcc_lo
	global_load_b64 v[9:10], v[5:6], off
	global_load_b64 v[7:8], v[7:8], off
	s_waitcnt vmcnt(0)
	v_fma_f64 v[7:8], v[7:8], s[2:3], v[9:10]
	global_store_b64 v[5:6], v[7:8], off
.LBB31_5:
	s_or_b32 exec_lo, exec_lo, s0
	v_or_b32_e32 v5, 2, v4
	s_delay_alu instid0(VALU_DEP_1) | instskip(SKIP_1) | instid1(SALU_CYCLE_1)
	v_cmp_gt_u32_e32 vcc_lo, s10, v5
	;; [unrolled: 31-line block ×3, first 2 shown]
	s_and_b32 s0, s11, vcc_lo
	s_and_b32 exec_lo, exec_lo, s0
	s_cbranch_execz .LBB31_9
; %bb.8:
	v_mad_u64_u32 v[5:6], null, v4, s8, 0
	v_mad_u64_u32 v[7:8], null, v4, s4, 0
	s_delay_alu instid0(VALU_DEP_1) | instskip(NEXT) | instid1(VALU_DEP_1)
	v_mad_u64_u32 v[9:10], null, v4, s9, v[6:7]
	v_mad_u64_u32 v[10:11], null, v4, s5, v[8:9]
	v_mov_b32_e32 v6, v9
	s_delay_alu instid0(VALU_DEP_1) | instskip(NEXT) | instid1(VALU_DEP_3)
	v_lshlrev_b64 v[4:5], 3, v[5:6]
	v_mov_b32_e32 v8, v10
	s_delay_alu instid0(VALU_DEP_2) | instskip(NEXT) | instid1(VALU_DEP_2)
	v_add_co_u32 v2, vcc_lo, v2, v4
	v_lshlrev_b64 v[6:7], 3, v[7:8]
	s_delay_alu instid0(VALU_DEP_4) | instskip(NEXT) | instid1(VALU_DEP_2)
	v_add_co_ci_u32_e32 v3, vcc_lo, v3, v5, vcc_lo
	v_add_co_u32 v0, vcc_lo, v0, v6
	s_delay_alu instid0(VALU_DEP_3)
	v_add_co_ci_u32_e32 v1, vcc_lo, v1, v7, vcc_lo
	global_load_b64 v[4:5], v[2:3], off
	global_load_b64 v[0:1], v[0:1], off
	s_waitcnt vmcnt(0)
	v_fma_f64 v[0:1], v[0:1], s[2:3], v[4:5]
	global_store_b64 v[2:3], v[0:1], off
.LBB31_9:
	s_nop 0
	s_sendmsg sendmsg(MSG_DEALLOC_VGPRS)
	s_endpgm
	.section	.rodata,"a",@progbits
	.p2align	6, 0x0
	.amdhsa_kernel _ZL27rocblas_axpy_kernel_batchedIiLi128ELi8EddPKdPdEviT3_lT4_lT_lT5_lS5_li
		.amdhsa_group_segment_fixed_size 0
		.amdhsa_private_segment_fixed_size 0
		.amdhsa_kernarg_size 92
		.amdhsa_user_sgpr_count 14
		.amdhsa_user_sgpr_dispatch_ptr 0
		.amdhsa_user_sgpr_queue_ptr 0
		.amdhsa_user_sgpr_kernarg_segment_ptr 1
		.amdhsa_user_sgpr_dispatch_id 0
		.amdhsa_user_sgpr_private_segment_size 0
		.amdhsa_wavefront_size32 1
		.amdhsa_uses_dynamic_stack 0
		.amdhsa_enable_private_segment 0
		.amdhsa_system_sgpr_workgroup_id_x 1
		.amdhsa_system_sgpr_workgroup_id_y 0
		.amdhsa_system_sgpr_workgroup_id_z 1
		.amdhsa_system_sgpr_workgroup_info 0
		.amdhsa_system_vgpr_workitem_id 1
		.amdhsa_next_free_vgpr 13
		.amdhsa_next_free_sgpr 20
		.amdhsa_reserve_vcc 1
		.amdhsa_float_round_mode_32 0
		.amdhsa_float_round_mode_16_64 0
		.amdhsa_float_denorm_mode_32 3
		.amdhsa_float_denorm_mode_16_64 3
		.amdhsa_dx10_clamp 1
		.amdhsa_ieee_mode 1
		.amdhsa_fp16_overflow 0
		.amdhsa_workgroup_processor_mode 1
		.amdhsa_memory_ordered 1
		.amdhsa_forward_progress 0
		.amdhsa_shared_vgpr_count 0
		.amdhsa_exception_fp_ieee_invalid_op 0
		.amdhsa_exception_fp_denorm_src 0
		.amdhsa_exception_fp_ieee_div_zero 0
		.amdhsa_exception_fp_ieee_overflow 0
		.amdhsa_exception_fp_ieee_underflow 0
		.amdhsa_exception_fp_ieee_inexact 0
		.amdhsa_exception_int_div_zero 0
	.end_amdhsa_kernel
	.section	.text._ZL27rocblas_axpy_kernel_batchedIiLi128ELi8EddPKdPdEviT3_lT4_lT_lT5_lS5_li,"axG",@progbits,_ZL27rocblas_axpy_kernel_batchedIiLi128ELi8EddPKdPdEviT3_lT4_lT_lT5_lS5_li,comdat
.Lfunc_end31:
	.size	_ZL27rocblas_axpy_kernel_batchedIiLi128ELi8EddPKdPdEviT3_lT4_lT_lT5_lS5_li, .Lfunc_end31-_ZL27rocblas_axpy_kernel_batchedIiLi128ELi8EddPKdPdEviT3_lT4_lT_lT5_lS5_li
                                        ; -- End function
	.section	.AMDGPU.csdata,"",@progbits
; Kernel info:
; codeLenInByte = 960
; NumSgprs: 22
; NumVgprs: 13
; ScratchSize: 0
; MemoryBound: 0
; FloatMode: 240
; IeeeMode: 1
; LDSByteSize: 0 bytes/workgroup (compile time only)
; SGPRBlocks: 2
; VGPRBlocks: 1
; NumSGPRsForWavesPerEU: 22
; NumVGPRsForWavesPerEU: 13
; Occupancy: 16
; WaveLimiterHint : 0
; COMPUTE_PGM_RSRC2:SCRATCH_EN: 0
; COMPUTE_PGM_RSRC2:USER_SGPR: 14
; COMPUTE_PGM_RSRC2:TRAP_HANDLER: 0
; COMPUTE_PGM_RSRC2:TGID_X_EN: 1
; COMPUTE_PGM_RSRC2:TGID_Y_EN: 0
; COMPUTE_PGM_RSRC2:TGID_Z_EN: 1
; COMPUTE_PGM_RSRC2:TIDIG_COMP_CNT: 1
	.section	.text._ZL19rocblas_axpy_kernelIiLi256EdPKdS1_PdEviT2_lT3_lT_lT4_lS5_li,"axG",@progbits,_ZL19rocblas_axpy_kernelIiLi256EdPKdS1_PdEviT2_lT3_lT_lT4_lS5_li,comdat
	.globl	_ZL19rocblas_axpy_kernelIiLi256EdPKdS1_PdEviT2_lT3_lT_lT4_lS5_li ; -- Begin function _ZL19rocblas_axpy_kernelIiLi256EdPKdS1_PdEviT2_lT3_lT_lT4_lS5_li
	.p2align	8
	.type	_ZL19rocblas_axpy_kernelIiLi256EdPKdS1_PdEviT2_lT3_lT_lT4_lS5_li,@function
_ZL19rocblas_axpy_kernelIiLi256EdPKdS1_PdEviT2_lT3_lT_lT4_lS5_li: ; @_ZL19rocblas_axpy_kernelIiLi256EdPKdS1_PdEviT2_lT3_lT_lT4_lS5_li
; %bb.0:
	s_clause 0x1
	s_load_b128 s[4:7], s[0:1], 0x8
	s_load_b32 s8, s[0:1], 0x0
	v_lshl_or_b32 v0, s14, 8, v0
	v_mov_b32_e32 v1, 0
	s_waitcnt lgkmcnt(0)
	s_mul_i32 s2, s15, s7
	s_mul_hi_u32 s3, s15, s6
	s_ashr_i32 s9, s8, 31
	s_add_i32 s3, s3, s2
	s_mul_i32 s2, s15, s6
	v_cmp_gt_i64_e32 vcc_lo, s[8:9], v[0:1]
	s_lshl_b64 s[2:3], s[2:3], 3
	s_delay_alu instid0(SALU_CYCLE_1) | instskip(SKIP_4) | instid1(VALU_DEP_1)
	s_add_u32 s2, s4, s2
	s_addc_u32 s3, s5, s3
	s_load_b64 s[2:3], s[2:3], 0x0
	s_waitcnt lgkmcnt(0)
	v_cmp_neq_f64_e64 s4, s[2:3], 0
	s_and_b32 s4, vcc_lo, s4
	s_delay_alu instid0(SALU_CYCLE_1)
	s_and_saveexec_b32 s5, s4
	s_cbranch_execz .LBB32_2
; %bb.1:
	s_clause 0x5
	s_load_b32 s14, s[0:1], 0x28
	s_load_b32 s16, s[0:1], 0x48
	s_load_b128 s[4:7], s[0:1], 0x30
	s_load_b64 s[12:13], s[0:1], 0x50
	s_load_b128 s[8:11], s[0:1], 0x18
	s_load_b64 s[0:1], s[0:1], 0x40
	s_waitcnt lgkmcnt(0)
	v_mad_u64_u32 v[1:2], null, s14, v0, 0
	v_mad_u64_u32 v[3:4], null, s16, v0, 0
	s_ashr_i32 s18, s16, 31
	s_ashr_i32 s17, s14, 31
	s_mul_i32 s5, s15, s5
	s_mul_hi_u32 s14, s15, s4
	s_mul_i32 s4, s15, s4
	s_add_i32 s5, s14, s5
	s_delay_alu instid0(VALU_DEP_1)
	v_mad_u64_u32 v[5:6], null, s18, v0, v[4:5]
	v_mad_u64_u32 v[6:7], null, s17, v0, v[2:3]
	s_lshl_b64 s[4:5], s[4:5], 3
	s_mul_i32 s13, s15, s13
	s_add_u32 s8, s8, s4
	s_addc_u32 s9, s9, s5
	s_lshl_b64 s[4:5], s[10:11], 3
	s_mul_hi_u32 s14, s15, s12
	v_mov_b32_e32 v4, v5
	s_add_u32 s8, s4, s8
	s_mul_i32 s12, s15, s12
	s_addc_u32 s9, s5, s9
	s_add_i32 s13, s14, s13
	v_mov_b32_e32 v2, v6
	s_lshl_b64 s[4:5], s[12:13], 3
	v_lshlrev_b64 v[3:4], 3, v[3:4]
	s_add_u32 s4, s6, s4
	s_addc_u32 s5, s7, s5
	s_lshl_b64 s[0:1], s[0:1], 3
	v_lshlrev_b64 v[0:1], 3, v[1:2]
	s_add_u32 s0, s0, s4
	s_addc_u32 s1, s1, s5
	v_add_co_u32 v2, vcc_lo, s0, v3
	v_add_co_ci_u32_e32 v3, vcc_lo, s1, v4, vcc_lo
	s_delay_alu instid0(VALU_DEP_3)
	v_add_co_u32 v0, vcc_lo, s8, v0
	v_add_co_ci_u32_e32 v1, vcc_lo, s9, v1, vcc_lo
	global_load_b64 v[4:5], v[2:3], off
	global_load_b64 v[0:1], v[0:1], off
	s_waitcnt vmcnt(0)
	v_fma_f64 v[0:1], s[2:3], v[0:1], v[4:5]
	global_store_b64 v[2:3], v[0:1], off
.LBB32_2:
	s_nop 0
	s_sendmsg sendmsg(MSG_DEALLOC_VGPRS)
	s_endpgm
	.section	.rodata,"a",@progbits
	.p2align	6, 0x0
	.amdhsa_kernel _ZL19rocblas_axpy_kernelIiLi256EdPKdS1_PdEviT2_lT3_lT_lT4_lS5_li
		.amdhsa_group_segment_fixed_size 0
		.amdhsa_private_segment_fixed_size 0
		.amdhsa_kernarg_size 92
		.amdhsa_user_sgpr_count 14
		.amdhsa_user_sgpr_dispatch_ptr 0
		.amdhsa_user_sgpr_queue_ptr 0
		.amdhsa_user_sgpr_kernarg_segment_ptr 1
		.amdhsa_user_sgpr_dispatch_id 0
		.amdhsa_user_sgpr_private_segment_size 0
		.amdhsa_wavefront_size32 1
		.amdhsa_uses_dynamic_stack 0
		.amdhsa_enable_private_segment 0
		.amdhsa_system_sgpr_workgroup_id_x 1
		.amdhsa_system_sgpr_workgroup_id_y 0
		.amdhsa_system_sgpr_workgroup_id_z 1
		.amdhsa_system_sgpr_workgroup_info 0
		.amdhsa_system_vgpr_workitem_id 0
		.amdhsa_next_free_vgpr 8
		.amdhsa_next_free_sgpr 19
		.amdhsa_reserve_vcc 1
		.amdhsa_float_round_mode_32 0
		.amdhsa_float_round_mode_16_64 0
		.amdhsa_float_denorm_mode_32 3
		.amdhsa_float_denorm_mode_16_64 3
		.amdhsa_dx10_clamp 1
		.amdhsa_ieee_mode 1
		.amdhsa_fp16_overflow 0
		.amdhsa_workgroup_processor_mode 1
		.amdhsa_memory_ordered 1
		.amdhsa_forward_progress 0
		.amdhsa_shared_vgpr_count 0
		.amdhsa_exception_fp_ieee_invalid_op 0
		.amdhsa_exception_fp_denorm_src 0
		.amdhsa_exception_fp_ieee_div_zero 0
		.amdhsa_exception_fp_ieee_overflow 0
		.amdhsa_exception_fp_ieee_underflow 0
		.amdhsa_exception_fp_ieee_inexact 0
		.amdhsa_exception_int_div_zero 0
	.end_amdhsa_kernel
	.section	.text._ZL19rocblas_axpy_kernelIiLi256EdPKdS1_PdEviT2_lT3_lT_lT4_lS5_li,"axG",@progbits,_ZL19rocblas_axpy_kernelIiLi256EdPKdS1_PdEviT2_lT3_lT_lT4_lS5_li,comdat
.Lfunc_end32:
	.size	_ZL19rocblas_axpy_kernelIiLi256EdPKdS1_PdEviT2_lT3_lT_lT4_lS5_li, .Lfunc_end32-_ZL19rocblas_axpy_kernelIiLi256EdPKdS1_PdEviT2_lT3_lT_lT4_lS5_li
                                        ; -- End function
	.section	.AMDGPU.csdata,"",@progbits
; Kernel info:
; codeLenInByte = 392
; NumSgprs: 21
; NumVgprs: 8
; ScratchSize: 0
; MemoryBound: 0
; FloatMode: 240
; IeeeMode: 1
; LDSByteSize: 0 bytes/workgroup (compile time only)
; SGPRBlocks: 2
; VGPRBlocks: 0
; NumSGPRsForWavesPerEU: 21
; NumVGPRsForWavesPerEU: 8
; Occupancy: 16
; WaveLimiterHint : 0
; COMPUTE_PGM_RSRC2:SCRATCH_EN: 0
; COMPUTE_PGM_RSRC2:USER_SGPR: 14
; COMPUTE_PGM_RSRC2:TRAP_HANDLER: 0
; COMPUTE_PGM_RSRC2:TGID_X_EN: 1
; COMPUTE_PGM_RSRC2:TGID_Y_EN: 0
; COMPUTE_PGM_RSRC2:TGID_Z_EN: 1
; COMPUTE_PGM_RSRC2:TIDIG_COMP_CNT: 0
	.section	.text._ZL19rocblas_axpy_kernelIiLi256EddPKdPdEviT2_lT3_lT_lT4_lS5_li,"axG",@progbits,_ZL19rocblas_axpy_kernelIiLi256EddPKdPdEviT2_lT3_lT_lT4_lS5_li,comdat
	.globl	_ZL19rocblas_axpy_kernelIiLi256EddPKdPdEviT2_lT3_lT_lT4_lS5_li ; -- Begin function _ZL19rocblas_axpy_kernelIiLi256EddPKdPdEviT2_lT3_lT_lT4_lS5_li
	.p2align	8
	.type	_ZL19rocblas_axpy_kernelIiLi256EddPKdPdEviT2_lT3_lT_lT4_lS5_li,@function
_ZL19rocblas_axpy_kernelIiLi256EddPKdPdEviT2_lT3_lT_lT4_lS5_li: ; @_ZL19rocblas_axpy_kernelIiLi256EddPKdPdEviT2_lT3_lT_lT4_lS5_li
; %bb.0:
	s_clause 0x1
	s_load_b64 s[2:3], s[0:1], 0x8
	s_load_b32 s4, s[0:1], 0x0
	v_lshl_or_b32 v0, s14, 8, v0
	v_mov_b32_e32 v1, 0
	s_waitcnt lgkmcnt(0)
	v_cmp_neq_f64_e64 s6, s[2:3], 0
	s_ashr_i32 s5, s4, 31
	s_delay_alu instid0(VALU_DEP_2) | instid1(SALU_CYCLE_1)
	v_cmp_gt_i64_e32 vcc_lo, s[4:5], v[0:1]
	s_delay_alu instid0(VALU_DEP_2) | instskip(NEXT) | instid1(SALU_CYCLE_1)
	s_and_b32 s4, s6, vcc_lo
	s_and_saveexec_b32 s5, s4
	s_cbranch_execz .LBB33_2
; %bb.1:
	s_clause 0x5
	s_load_b32 s14, s[0:1], 0x28
	s_load_b32 s16, s[0:1], 0x48
	s_load_b128 s[4:7], s[0:1], 0x30
	s_load_b64 s[12:13], s[0:1], 0x50
	s_load_b128 s[8:11], s[0:1], 0x18
	s_load_b64 s[0:1], s[0:1], 0x40
	s_waitcnt lgkmcnt(0)
	v_mad_u64_u32 v[1:2], null, s14, v0, 0
	v_mad_u64_u32 v[3:4], null, s16, v0, 0
	s_ashr_i32 s18, s16, 31
	s_ashr_i32 s17, s14, 31
	s_mul_i32 s5, s15, s5
	s_mul_hi_u32 s14, s15, s4
	s_mul_i32 s4, s15, s4
	s_add_i32 s5, s14, s5
	s_delay_alu instid0(VALU_DEP_1)
	v_mad_u64_u32 v[5:6], null, s18, v0, v[4:5]
	v_mad_u64_u32 v[6:7], null, s17, v0, v[2:3]
	s_lshl_b64 s[4:5], s[4:5], 3
	s_mul_i32 s13, s15, s13
	s_add_u32 s8, s8, s4
	s_addc_u32 s9, s9, s5
	s_lshl_b64 s[4:5], s[10:11], 3
	s_mul_hi_u32 s14, s15, s12
	v_mov_b32_e32 v4, v5
	s_add_u32 s8, s4, s8
	s_mul_i32 s12, s15, s12
	s_addc_u32 s9, s5, s9
	s_add_i32 s13, s14, s13
	v_mov_b32_e32 v2, v6
	s_lshl_b64 s[4:5], s[12:13], 3
	v_lshlrev_b64 v[3:4], 3, v[3:4]
	s_add_u32 s4, s6, s4
	s_addc_u32 s5, s7, s5
	s_lshl_b64 s[0:1], s[0:1], 3
	v_lshlrev_b64 v[0:1], 3, v[1:2]
	s_add_u32 s0, s0, s4
	s_addc_u32 s1, s1, s5
	v_add_co_u32 v2, vcc_lo, s0, v3
	v_add_co_ci_u32_e32 v3, vcc_lo, s1, v4, vcc_lo
	s_delay_alu instid0(VALU_DEP_3)
	v_add_co_u32 v0, vcc_lo, s8, v0
	v_add_co_ci_u32_e32 v1, vcc_lo, s9, v1, vcc_lo
	global_load_b64 v[4:5], v[2:3], off
	global_load_b64 v[0:1], v[0:1], off
	s_waitcnt vmcnt(0)
	v_fma_f64 v[0:1], v[0:1], s[2:3], v[4:5]
	global_store_b64 v[2:3], v[0:1], off
.LBB33_2:
	s_nop 0
	s_sendmsg sendmsg(MSG_DEALLOC_VGPRS)
	s_endpgm
	.section	.rodata,"a",@progbits
	.p2align	6, 0x0
	.amdhsa_kernel _ZL19rocblas_axpy_kernelIiLi256EddPKdPdEviT2_lT3_lT_lT4_lS5_li
		.amdhsa_group_segment_fixed_size 0
		.amdhsa_private_segment_fixed_size 0
		.amdhsa_kernarg_size 92
		.amdhsa_user_sgpr_count 14
		.amdhsa_user_sgpr_dispatch_ptr 0
		.amdhsa_user_sgpr_queue_ptr 0
		.amdhsa_user_sgpr_kernarg_segment_ptr 1
		.amdhsa_user_sgpr_dispatch_id 0
		.amdhsa_user_sgpr_private_segment_size 0
		.amdhsa_wavefront_size32 1
		.amdhsa_uses_dynamic_stack 0
		.amdhsa_enable_private_segment 0
		.amdhsa_system_sgpr_workgroup_id_x 1
		.amdhsa_system_sgpr_workgroup_id_y 0
		.amdhsa_system_sgpr_workgroup_id_z 1
		.amdhsa_system_sgpr_workgroup_info 0
		.amdhsa_system_vgpr_workitem_id 0
		.amdhsa_next_free_vgpr 8
		.amdhsa_next_free_sgpr 19
		.amdhsa_reserve_vcc 1
		.amdhsa_float_round_mode_32 0
		.amdhsa_float_round_mode_16_64 0
		.amdhsa_float_denorm_mode_32 3
		.amdhsa_float_denorm_mode_16_64 3
		.amdhsa_dx10_clamp 1
		.amdhsa_ieee_mode 1
		.amdhsa_fp16_overflow 0
		.amdhsa_workgroup_processor_mode 1
		.amdhsa_memory_ordered 1
		.amdhsa_forward_progress 0
		.amdhsa_shared_vgpr_count 0
		.amdhsa_exception_fp_ieee_invalid_op 0
		.amdhsa_exception_fp_denorm_src 0
		.amdhsa_exception_fp_ieee_div_zero 0
		.amdhsa_exception_fp_ieee_overflow 0
		.amdhsa_exception_fp_ieee_underflow 0
		.amdhsa_exception_fp_ieee_inexact 0
		.amdhsa_exception_int_div_zero 0
	.end_amdhsa_kernel
	.section	.text._ZL19rocblas_axpy_kernelIiLi256EddPKdPdEviT2_lT3_lT_lT4_lS5_li,"axG",@progbits,_ZL19rocblas_axpy_kernelIiLi256EddPKdPdEviT2_lT3_lT_lT4_lS5_li,comdat
.Lfunc_end33:
	.size	_ZL19rocblas_axpy_kernelIiLi256EddPKdPdEviT2_lT3_lT_lT4_lS5_li, .Lfunc_end33-_ZL19rocblas_axpy_kernelIiLi256EddPKdPdEviT2_lT3_lT_lT4_lS5_li
                                        ; -- End function
	.section	.AMDGPU.csdata,"",@progbits
; Kernel info:
; codeLenInByte = 352
; NumSgprs: 21
; NumVgprs: 8
; ScratchSize: 0
; MemoryBound: 0
; FloatMode: 240
; IeeeMode: 1
; LDSByteSize: 0 bytes/workgroup (compile time only)
; SGPRBlocks: 2
; VGPRBlocks: 0
; NumSGPRsForWavesPerEU: 21
; NumVGPRsForWavesPerEU: 8
; Occupancy: 16
; WaveLimiterHint : 0
; COMPUTE_PGM_RSRC2:SCRATCH_EN: 0
; COMPUTE_PGM_RSRC2:USER_SGPR: 14
; COMPUTE_PGM_RSRC2:TRAP_HANDLER: 0
; COMPUTE_PGM_RSRC2:TGID_X_EN: 1
; COMPUTE_PGM_RSRC2:TGID_Y_EN: 0
; COMPUTE_PGM_RSRC2:TGID_Z_EN: 1
; COMPUTE_PGM_RSRC2:TIDIG_COMP_CNT: 0
	.section	.text._ZL19rocblas_axpy_kernelIlLi256EdPKdS1_PdEviT2_lT3_lT_lT4_lS5_li,"axG",@progbits,_ZL19rocblas_axpy_kernelIlLi256EdPKdS1_PdEviT2_lT3_lT_lT4_lS5_li,comdat
	.globl	_ZL19rocblas_axpy_kernelIlLi256EdPKdS1_PdEviT2_lT3_lT_lT4_lS5_li ; -- Begin function _ZL19rocblas_axpy_kernelIlLi256EdPKdS1_PdEviT2_lT3_lT_lT4_lS5_li
	.p2align	8
	.type	_ZL19rocblas_axpy_kernelIlLi256EdPKdS1_PdEviT2_lT3_lT_lT4_lS5_li,@function
_ZL19rocblas_axpy_kernelIlLi256EdPKdS1_PdEviT2_lT3_lT_lT4_lS5_li: ; @_ZL19rocblas_axpy_kernelIlLi256EdPKdS1_PdEviT2_lT3_lT_lT4_lS5_li
; %bb.0:
	s_clause 0x1
	s_load_b128 s[4:7], s[0:1], 0x8
	s_load_b32 s8, s[0:1], 0x0
	v_lshl_or_b32 v0, s14, 8, v0
	v_mov_b32_e32 v1, 0
	s_waitcnt lgkmcnt(0)
	s_mul_i32 s2, s15, s7
	s_mul_hi_u32 s3, s15, s6
	s_ashr_i32 s9, s8, 31
	s_add_i32 s3, s3, s2
	s_mul_i32 s2, s15, s6
	v_cmp_gt_i64_e32 vcc_lo, s[8:9], v[0:1]
	s_lshl_b64 s[2:3], s[2:3], 3
	s_delay_alu instid0(SALU_CYCLE_1) | instskip(SKIP_4) | instid1(VALU_DEP_1)
	s_add_u32 s2, s4, s2
	s_addc_u32 s3, s5, s3
	s_load_b64 s[2:3], s[2:3], 0x0
	s_waitcnt lgkmcnt(0)
	v_cmp_neq_f64_e64 s4, s[2:3], 0
	s_and_b32 s4, vcc_lo, s4
	s_delay_alu instid0(SALU_CYCLE_1)
	s_and_saveexec_b32 s5, s4
	s_cbranch_execz .LBB34_2
; %bb.1:
	s_clause 0x3
	s_load_b128 s[16:19], s[0:1], 0x20
	s_load_b256 s[4:11], s[0:1], 0x30
	s_load_b64 s[12:13], s[0:1], 0x50
	s_load_b64 s[0:1], s[0:1], 0x18
	s_waitcnt lgkmcnt(0)
	v_mad_u64_u32 v[1:2], null, v0, s18, 0
	v_mad_u64_u32 v[3:4], null, v0, s10, 0
	s_mul_i32 s5, s15, s5
	s_mul_hi_u32 s14, s15, s4
	s_mul_i32 s4, s15, s4
	s_add_i32 s5, s14, s5
	s_mul_i32 s13, s15, s13
	s_lshl_b64 s[4:5], s[4:5], 3
	s_delay_alu instid0(VALU_DEP_1)
	v_mad_u64_u32 v[5:6], null, v0, s11, v[4:5]
	v_mad_u64_u32 v[6:7], null, v0, s19, v[2:3]
	s_add_u32 s4, s0, s4
	s_addc_u32 s5, s1, s5
	s_lshl_b64 s[0:1], s[16:17], 3
	s_mul_hi_u32 s14, s15, s12
	s_delay_alu instid0(VALU_DEP_2)
	v_mov_b32_e32 v4, v5
	s_add_u32 s4, s0, s4
	s_mul_i32 s10, s15, s12
	s_addc_u32 s5, s1, s5
	s_add_i32 s11, s14, s13
	v_mov_b32_e32 v2, v6
	s_lshl_b64 s[0:1], s[10:11], 3
	v_lshlrev_b64 v[3:4], 3, v[3:4]
	s_add_u32 s6, s6, s0
	s_addc_u32 s7, s7, s1
	s_lshl_b64 s[0:1], s[8:9], 3
	v_lshlrev_b64 v[0:1], 3, v[1:2]
	s_add_u32 s0, s0, s6
	s_addc_u32 s1, s1, s7
	v_add_co_u32 v2, vcc_lo, s0, v3
	v_add_co_ci_u32_e32 v3, vcc_lo, s1, v4, vcc_lo
	s_delay_alu instid0(VALU_DEP_3)
	v_add_co_u32 v0, vcc_lo, s4, v0
	v_add_co_ci_u32_e32 v1, vcc_lo, s5, v1, vcc_lo
	global_load_b64 v[4:5], v[2:3], off
	global_load_b64 v[0:1], v[0:1], off
	s_waitcnt vmcnt(0)
	v_fma_f64 v[0:1], s[2:3], v[0:1], v[4:5]
	global_store_b64 v[2:3], v[0:1], off
.LBB34_2:
	s_nop 0
	s_sendmsg sendmsg(MSG_DEALLOC_VGPRS)
	s_endpgm
	.section	.rodata,"a",@progbits
	.p2align	6, 0x0
	.amdhsa_kernel _ZL19rocblas_axpy_kernelIlLi256EdPKdS1_PdEviT2_lT3_lT_lT4_lS5_li
		.amdhsa_group_segment_fixed_size 0
		.amdhsa_private_segment_fixed_size 0
		.amdhsa_kernarg_size 92
		.amdhsa_user_sgpr_count 14
		.amdhsa_user_sgpr_dispatch_ptr 0
		.amdhsa_user_sgpr_queue_ptr 0
		.amdhsa_user_sgpr_kernarg_segment_ptr 1
		.amdhsa_user_sgpr_dispatch_id 0
		.amdhsa_user_sgpr_private_segment_size 0
		.amdhsa_wavefront_size32 1
		.amdhsa_uses_dynamic_stack 0
		.amdhsa_enable_private_segment 0
		.amdhsa_system_sgpr_workgroup_id_x 1
		.amdhsa_system_sgpr_workgroup_id_y 0
		.amdhsa_system_sgpr_workgroup_id_z 1
		.amdhsa_system_sgpr_workgroup_info 0
		.amdhsa_system_vgpr_workitem_id 0
		.amdhsa_next_free_vgpr 8
		.amdhsa_next_free_sgpr 20
		.amdhsa_reserve_vcc 1
		.amdhsa_float_round_mode_32 0
		.amdhsa_float_round_mode_16_64 0
		.amdhsa_float_denorm_mode_32 3
		.amdhsa_float_denorm_mode_16_64 3
		.amdhsa_dx10_clamp 1
		.amdhsa_ieee_mode 1
		.amdhsa_fp16_overflow 0
		.amdhsa_workgroup_processor_mode 1
		.amdhsa_memory_ordered 1
		.amdhsa_forward_progress 0
		.amdhsa_shared_vgpr_count 0
		.amdhsa_exception_fp_ieee_invalid_op 0
		.amdhsa_exception_fp_denorm_src 0
		.amdhsa_exception_fp_ieee_div_zero 0
		.amdhsa_exception_fp_ieee_overflow 0
		.amdhsa_exception_fp_ieee_underflow 0
		.amdhsa_exception_fp_ieee_inexact 0
		.amdhsa_exception_int_div_zero 0
	.end_amdhsa_kernel
	.section	.text._ZL19rocblas_axpy_kernelIlLi256EdPKdS1_PdEviT2_lT3_lT_lT4_lS5_li,"axG",@progbits,_ZL19rocblas_axpy_kernelIlLi256EdPKdS1_PdEviT2_lT3_lT_lT4_lS5_li,comdat
.Lfunc_end34:
	.size	_ZL19rocblas_axpy_kernelIlLi256EdPKdS1_PdEviT2_lT3_lT_lT4_lS5_li, .Lfunc_end34-_ZL19rocblas_axpy_kernelIlLi256EdPKdS1_PdEviT2_lT3_lT_lT4_lS5_li
                                        ; -- End function
	.section	.AMDGPU.csdata,"",@progbits
; Kernel info:
; codeLenInByte = 372
; NumSgprs: 22
; NumVgprs: 8
; ScratchSize: 0
; MemoryBound: 0
; FloatMode: 240
; IeeeMode: 1
; LDSByteSize: 0 bytes/workgroup (compile time only)
; SGPRBlocks: 2
; VGPRBlocks: 0
; NumSGPRsForWavesPerEU: 22
; NumVGPRsForWavesPerEU: 8
; Occupancy: 16
; WaveLimiterHint : 0
; COMPUTE_PGM_RSRC2:SCRATCH_EN: 0
; COMPUTE_PGM_RSRC2:USER_SGPR: 14
; COMPUTE_PGM_RSRC2:TRAP_HANDLER: 0
; COMPUTE_PGM_RSRC2:TGID_X_EN: 1
; COMPUTE_PGM_RSRC2:TGID_Y_EN: 0
; COMPUTE_PGM_RSRC2:TGID_Z_EN: 1
; COMPUTE_PGM_RSRC2:TIDIG_COMP_CNT: 0
	.section	.text._ZL19rocblas_axpy_kernelIlLi256EddPKdPdEviT2_lT3_lT_lT4_lS5_li,"axG",@progbits,_ZL19rocblas_axpy_kernelIlLi256EddPKdPdEviT2_lT3_lT_lT4_lS5_li,comdat
	.globl	_ZL19rocblas_axpy_kernelIlLi256EddPKdPdEviT2_lT3_lT_lT4_lS5_li ; -- Begin function _ZL19rocblas_axpy_kernelIlLi256EddPKdPdEviT2_lT3_lT_lT4_lS5_li
	.p2align	8
	.type	_ZL19rocblas_axpy_kernelIlLi256EddPKdPdEviT2_lT3_lT_lT4_lS5_li,@function
_ZL19rocblas_axpy_kernelIlLi256EddPKdPdEviT2_lT3_lT_lT4_lS5_li: ; @_ZL19rocblas_axpy_kernelIlLi256EddPKdPdEviT2_lT3_lT_lT4_lS5_li
; %bb.0:
	s_clause 0x1
	s_load_b64 s[2:3], s[0:1], 0x8
	s_load_b32 s4, s[0:1], 0x0
	v_lshl_or_b32 v0, s14, 8, v0
	v_mov_b32_e32 v1, 0
	s_waitcnt lgkmcnt(0)
	v_cmp_neq_f64_e64 s6, s[2:3], 0
	s_ashr_i32 s5, s4, 31
	s_delay_alu instid0(VALU_DEP_2) | instid1(SALU_CYCLE_1)
	v_cmp_gt_i64_e32 vcc_lo, s[4:5], v[0:1]
	s_delay_alu instid0(VALU_DEP_2) | instskip(NEXT) | instid1(SALU_CYCLE_1)
	s_and_b32 s4, s6, vcc_lo
	s_and_saveexec_b32 s5, s4
	s_cbranch_execz .LBB35_2
; %bb.1:
	s_clause 0x3
	s_load_b128 s[16:19], s[0:1], 0x20
	s_load_b256 s[4:11], s[0:1], 0x30
	s_load_b64 s[12:13], s[0:1], 0x50
	s_load_b64 s[0:1], s[0:1], 0x18
	s_waitcnt lgkmcnt(0)
	v_mad_u64_u32 v[1:2], null, v0, s18, 0
	v_mad_u64_u32 v[3:4], null, v0, s10, 0
	s_mul_i32 s5, s15, s5
	s_mul_hi_u32 s14, s15, s4
	s_mul_i32 s4, s15, s4
	s_add_i32 s5, s14, s5
	s_mul_i32 s13, s15, s13
	s_lshl_b64 s[4:5], s[4:5], 3
	s_delay_alu instid0(VALU_DEP_1)
	v_mad_u64_u32 v[5:6], null, v0, s11, v[4:5]
	v_mad_u64_u32 v[6:7], null, v0, s19, v[2:3]
	s_add_u32 s4, s0, s4
	s_addc_u32 s5, s1, s5
	s_lshl_b64 s[0:1], s[16:17], 3
	s_mul_hi_u32 s14, s15, s12
	s_delay_alu instid0(VALU_DEP_2)
	v_mov_b32_e32 v4, v5
	s_add_u32 s4, s0, s4
	s_mul_i32 s10, s15, s12
	s_addc_u32 s5, s1, s5
	s_add_i32 s11, s14, s13
	v_mov_b32_e32 v2, v6
	s_lshl_b64 s[0:1], s[10:11], 3
	v_lshlrev_b64 v[3:4], 3, v[3:4]
	s_add_u32 s6, s6, s0
	s_addc_u32 s7, s7, s1
	s_lshl_b64 s[0:1], s[8:9], 3
	v_lshlrev_b64 v[0:1], 3, v[1:2]
	s_add_u32 s0, s0, s6
	s_addc_u32 s1, s1, s7
	v_add_co_u32 v2, vcc_lo, s0, v3
	v_add_co_ci_u32_e32 v3, vcc_lo, s1, v4, vcc_lo
	s_delay_alu instid0(VALU_DEP_3)
	v_add_co_u32 v0, vcc_lo, s4, v0
	v_add_co_ci_u32_e32 v1, vcc_lo, s5, v1, vcc_lo
	global_load_b64 v[4:5], v[2:3], off
	global_load_b64 v[0:1], v[0:1], off
	s_waitcnt vmcnt(0)
	v_fma_f64 v[0:1], v[0:1], s[2:3], v[4:5]
	global_store_b64 v[2:3], v[0:1], off
.LBB35_2:
	s_nop 0
	s_sendmsg sendmsg(MSG_DEALLOC_VGPRS)
	s_endpgm
	.section	.rodata,"a",@progbits
	.p2align	6, 0x0
	.amdhsa_kernel _ZL19rocblas_axpy_kernelIlLi256EddPKdPdEviT2_lT3_lT_lT4_lS5_li
		.amdhsa_group_segment_fixed_size 0
		.amdhsa_private_segment_fixed_size 0
		.amdhsa_kernarg_size 92
		.amdhsa_user_sgpr_count 14
		.amdhsa_user_sgpr_dispatch_ptr 0
		.amdhsa_user_sgpr_queue_ptr 0
		.amdhsa_user_sgpr_kernarg_segment_ptr 1
		.amdhsa_user_sgpr_dispatch_id 0
		.amdhsa_user_sgpr_private_segment_size 0
		.amdhsa_wavefront_size32 1
		.amdhsa_uses_dynamic_stack 0
		.amdhsa_enable_private_segment 0
		.amdhsa_system_sgpr_workgroup_id_x 1
		.amdhsa_system_sgpr_workgroup_id_y 0
		.amdhsa_system_sgpr_workgroup_id_z 1
		.amdhsa_system_sgpr_workgroup_info 0
		.amdhsa_system_vgpr_workitem_id 0
		.amdhsa_next_free_vgpr 8
		.amdhsa_next_free_sgpr 20
		.amdhsa_reserve_vcc 1
		.amdhsa_float_round_mode_32 0
		.amdhsa_float_round_mode_16_64 0
		.amdhsa_float_denorm_mode_32 3
		.amdhsa_float_denorm_mode_16_64 3
		.amdhsa_dx10_clamp 1
		.amdhsa_ieee_mode 1
		.amdhsa_fp16_overflow 0
		.amdhsa_workgroup_processor_mode 1
		.amdhsa_memory_ordered 1
		.amdhsa_forward_progress 0
		.amdhsa_shared_vgpr_count 0
		.amdhsa_exception_fp_ieee_invalid_op 0
		.amdhsa_exception_fp_denorm_src 0
		.amdhsa_exception_fp_ieee_div_zero 0
		.amdhsa_exception_fp_ieee_overflow 0
		.amdhsa_exception_fp_ieee_underflow 0
		.amdhsa_exception_fp_ieee_inexact 0
		.amdhsa_exception_int_div_zero 0
	.end_amdhsa_kernel
	.section	.text._ZL19rocblas_axpy_kernelIlLi256EddPKdPdEviT2_lT3_lT_lT4_lS5_li,"axG",@progbits,_ZL19rocblas_axpy_kernelIlLi256EddPKdPdEviT2_lT3_lT_lT4_lS5_li,comdat
.Lfunc_end35:
	.size	_ZL19rocblas_axpy_kernelIlLi256EddPKdPdEviT2_lT3_lT_lT4_lS5_li, .Lfunc_end35-_ZL19rocblas_axpy_kernelIlLi256EddPKdPdEviT2_lT3_lT_lT4_lS5_li
                                        ; -- End function
	.section	.AMDGPU.csdata,"",@progbits
; Kernel info:
; codeLenInByte = 332
; NumSgprs: 22
; NumVgprs: 8
; ScratchSize: 0
; MemoryBound: 0
; FloatMode: 240
; IeeeMode: 1
; LDSByteSize: 0 bytes/workgroup (compile time only)
; SGPRBlocks: 2
; VGPRBlocks: 0
; NumSGPRsForWavesPerEU: 22
; NumVGPRsForWavesPerEU: 8
; Occupancy: 16
; WaveLimiterHint : 0
; COMPUTE_PGM_RSRC2:SCRATCH_EN: 0
; COMPUTE_PGM_RSRC2:USER_SGPR: 14
; COMPUTE_PGM_RSRC2:TRAP_HANDLER: 0
; COMPUTE_PGM_RSRC2:TGID_X_EN: 1
; COMPUTE_PGM_RSRC2:TGID_Y_EN: 0
; COMPUTE_PGM_RSRC2:TGID_Z_EN: 1
; COMPUTE_PGM_RSRC2:TIDIG_COMP_CNT: 0
	.section	.text._ZL26rocblas_haxpy_mlt_8_kernelILi256EPKDF16_PK19rocblas_complex_numIfEPS3_EviT0_lT1_llT2_lli,"axG",@progbits,_ZL26rocblas_haxpy_mlt_8_kernelILi256EPKDF16_PK19rocblas_complex_numIfEPS3_EviT0_lT1_llT2_lli,comdat
	.globl	_ZL26rocblas_haxpy_mlt_8_kernelILi256EPKDF16_PK19rocblas_complex_numIfEPS3_EviT0_lT1_llT2_lli ; -- Begin function _ZL26rocblas_haxpy_mlt_8_kernelILi256EPKDF16_PK19rocblas_complex_numIfEPS3_EviT0_lT1_llT2_lli
	.p2align	8
	.type	_ZL26rocblas_haxpy_mlt_8_kernelILi256EPKDF16_PK19rocblas_complex_numIfEPS3_EviT0_lT1_llT2_lli,@function
_ZL26rocblas_haxpy_mlt_8_kernelILi256EPKDF16_PK19rocblas_complex_numIfEPS3_EviT0_lT1_llT2_lli: ; @_ZL26rocblas_haxpy_mlt_8_kernelILi256EPKDF16_PK19rocblas_complex_numIfEPS3_EviT0_lT1_llT2_lli
; %bb.0:
	s_load_b512 s[16:31], s[0:1], 0x8
	v_mov_b32_e32 v1, 0
	s_waitcnt lgkmcnt(0)
	s_mul_i32 s3, s15, s19
	s_mul_hi_u32 s4, s15, s18
	s_mul_i32 s2, s15, s18
	s_add_i32 s3, s4, s3
	s_delay_alu instid0(SALU_CYCLE_1) | instskip(NEXT) | instid1(SALU_CYCLE_1)
	s_lshl_b64 s[2:3], s[2:3], 1
	s_add_u32 s2, s16, s2
	s_addc_u32 s3, s17, s3
	global_load_u16 v2, v1, s[2:3]
	s_waitcnt vmcnt(0)
	v_and_b32_e32 v3, 0xffff, v2
	s_delay_alu instid0(VALU_DEP_1) | instskip(NEXT) | instid1(VALU_DEP_1)
	v_lshl_or_b32 v3, v2, 16, v3
	v_and_b32_e32 v3, 0x7fff, v3
	s_delay_alu instid0(VALU_DEP_1)
	v_cmp_eq_u32_e32 vcc_lo, 0, v3
	s_cbranch_vccnz .LBB36_3
; %bb.1:
	s_load_b32 s0, s[0:1], 0x0
	v_lshl_or_b32 v0, s14, 8, v0
	s_delay_alu instid0(VALU_DEP_1)
	v_lshlrev_b64 v[0:1], 3, v[0:1]
	s_waitcnt lgkmcnt(0)
	s_ashr_i32 s1, s0, 31
	s_delay_alu instid0(VALU_DEP_1) | instid1(SALU_CYCLE_1)
	v_cmp_gt_i64_e32 vcc_lo, s[0:1], v[0:1]
	s_and_saveexec_b32 s0, vcc_lo
	s_cbranch_execz .LBB36_3
; %bb.2:
	s_mul_i32 s1, s15, s25
	s_mul_hi_u32 s2, s15, s24
	s_mul_i32 s0, s15, s24
	s_add_i32 s1, s2, s1
	s_mul_i32 s4, s15, s31
	s_lshl_b64 s[0:1], s[0:1], 3
	v_lshlrev_b64 v[0:1], 3, v[0:1]
	s_add_u32 s2, s20, s0
	s_addc_u32 s3, s21, s1
	s_lshl_b64 s[0:1], s[22:23], 3
	s_delay_alu instid0(SALU_CYCLE_1)
	s_add_u32 s2, s0, s2
	s_mul_hi_u32 s0, s15, s30
	s_addc_u32 s3, s1, s3
	s_add_i32 s1, s0, s4
	s_mul_i32 s0, s15, s30
	v_add_co_u32 v3, vcc_lo, s2, v0
	s_lshl_b64 s[0:1], s[0:1], 3
	v_add_co_ci_u32_e32 v4, vcc_lo, s3, v1, vcc_lo
	s_add_u32 s4, s26, s0
	s_addc_u32 s5, s27, s1
	s_lshl_b64 s[0:1], s[28:29], 3
	s_delay_alu instid0(SALU_CYCLE_1)
	s_add_u32 s0, s0, s4
	s_addc_u32 s1, s1, s5
	v_add_co_u32 v0, vcc_lo, s0, v0
	v_add_co_ci_u32_e32 v1, vcc_lo, s1, v1, vcc_lo
	global_load_b128 v[3:6], v[3:4], off
	global_load_b128 v[7:10], v[0:1], off
	s_waitcnt vmcnt(0)
	v_pk_fma_f16 v6, v2, v6, v10 op_sel_hi:[0,1,1]
	v_pk_fma_f16 v5, v2, v5, v9 op_sel_hi:[0,1,1]
	v_pk_fma_f16 v4, v2, v4, v8 op_sel_hi:[0,1,1]
	v_pk_fma_f16 v3, v2, v3, v7 op_sel_hi:[0,1,1]
	global_store_b128 v[0:1], v[3:6], off
.LBB36_3:
	s_nop 0
	s_sendmsg sendmsg(MSG_DEALLOC_VGPRS)
	s_endpgm
	.section	.rodata,"a",@progbits
	.p2align	6, 0x0
	.amdhsa_kernel _ZL26rocblas_haxpy_mlt_8_kernelILi256EPKDF16_PK19rocblas_complex_numIfEPS3_EviT0_lT1_llT2_lli
		.amdhsa_group_segment_fixed_size 0
		.amdhsa_private_segment_fixed_size 0
		.amdhsa_kernarg_size 76
		.amdhsa_user_sgpr_count 14
		.amdhsa_user_sgpr_dispatch_ptr 0
		.amdhsa_user_sgpr_queue_ptr 0
		.amdhsa_user_sgpr_kernarg_segment_ptr 1
		.amdhsa_user_sgpr_dispatch_id 0
		.amdhsa_user_sgpr_private_segment_size 0
		.amdhsa_wavefront_size32 1
		.amdhsa_uses_dynamic_stack 0
		.amdhsa_enable_private_segment 0
		.amdhsa_system_sgpr_workgroup_id_x 1
		.amdhsa_system_sgpr_workgroup_id_y 0
		.amdhsa_system_sgpr_workgroup_id_z 1
		.amdhsa_system_sgpr_workgroup_info 0
		.amdhsa_system_vgpr_workitem_id 0
		.amdhsa_next_free_vgpr 11
		.amdhsa_next_free_sgpr 32
		.amdhsa_reserve_vcc 1
		.amdhsa_float_round_mode_32 0
		.amdhsa_float_round_mode_16_64 0
		.amdhsa_float_denorm_mode_32 3
		.amdhsa_float_denorm_mode_16_64 3
		.amdhsa_dx10_clamp 1
		.amdhsa_ieee_mode 1
		.amdhsa_fp16_overflow 0
		.amdhsa_workgroup_processor_mode 1
		.amdhsa_memory_ordered 1
		.amdhsa_forward_progress 0
		.amdhsa_shared_vgpr_count 0
		.amdhsa_exception_fp_ieee_invalid_op 0
		.amdhsa_exception_fp_denorm_src 0
		.amdhsa_exception_fp_ieee_div_zero 0
		.amdhsa_exception_fp_ieee_overflow 0
		.amdhsa_exception_fp_ieee_underflow 0
		.amdhsa_exception_fp_ieee_inexact 0
		.amdhsa_exception_int_div_zero 0
	.end_amdhsa_kernel
	.section	.text._ZL26rocblas_haxpy_mlt_8_kernelILi256EPKDF16_PK19rocblas_complex_numIfEPS3_EviT0_lT1_llT2_lli,"axG",@progbits,_ZL26rocblas_haxpy_mlt_8_kernelILi256EPKDF16_PK19rocblas_complex_numIfEPS3_EviT0_lT1_llT2_lli,comdat
.Lfunc_end36:
	.size	_ZL26rocblas_haxpy_mlt_8_kernelILi256EPKDF16_PK19rocblas_complex_numIfEPS3_EviT0_lT1_llT2_lli, .Lfunc_end36-_ZL26rocblas_haxpy_mlt_8_kernelILi256EPKDF16_PK19rocblas_complex_numIfEPS3_EviT0_lT1_llT2_lli
                                        ; -- End function
	.section	.AMDGPU.csdata,"",@progbits
; Kernel info:
; codeLenInByte = 344
; NumSgprs: 34
; NumVgprs: 11
; ScratchSize: 0
; MemoryBound: 0
; FloatMode: 240
; IeeeMode: 1
; LDSByteSize: 0 bytes/workgroup (compile time only)
; SGPRBlocks: 4
; VGPRBlocks: 1
; NumSGPRsForWavesPerEU: 34
; NumVGPRsForWavesPerEU: 11
; Occupancy: 16
; WaveLimiterHint : 0
; COMPUTE_PGM_RSRC2:SCRATCH_EN: 0
; COMPUTE_PGM_RSRC2:USER_SGPR: 14
; COMPUTE_PGM_RSRC2:TRAP_HANDLER: 0
; COMPUTE_PGM_RSRC2:TGID_X_EN: 1
; COMPUTE_PGM_RSRC2:TGID_Y_EN: 0
; COMPUTE_PGM_RSRC2:TGID_Z_EN: 1
; COMPUTE_PGM_RSRC2:TIDIG_COMP_CNT: 0
	.section	.text._ZL26rocblas_haxpy_mod_8_kernelILi256EPK19rocblas_complex_numIfES3_PS1_EviT0_lT1_llT2_lli,"axG",@progbits,_ZL26rocblas_haxpy_mod_8_kernelILi256EPK19rocblas_complex_numIfES3_PS1_EviT0_lT1_llT2_lli,comdat
	.globl	_ZL26rocblas_haxpy_mod_8_kernelILi256EPK19rocblas_complex_numIfES3_PS1_EviT0_lT1_llT2_lli ; -- Begin function _ZL26rocblas_haxpy_mod_8_kernelILi256EPK19rocblas_complex_numIfES3_PS1_EviT0_lT1_llT2_lli
	.p2align	8
	.type	_ZL26rocblas_haxpy_mod_8_kernelILi256EPK19rocblas_complex_numIfES3_PS1_EviT0_lT1_llT2_lli,@function
_ZL26rocblas_haxpy_mod_8_kernelILi256EPK19rocblas_complex_numIfES3_PS1_EviT0_lT1_llT2_lli: ; @_ZL26rocblas_haxpy_mod_8_kernelILi256EPK19rocblas_complex_numIfES3_PS1_EviT0_lT1_llT2_lli
; %bb.0:
	s_clause 0x1
	s_load_b512 s[16:31], s[0:1], 0x8
	s_load_b32 s2, s[0:1], 0x0
	v_mov_b32_e32 v1, 0
	v_lshl_or_b32 v0, s14, 8, v0
	s_waitcnt lgkmcnt(0)
	s_mul_i32 s1, s15, s19
	s_mul_hi_u32 s3, s15, s18
	s_mul_i32 s0, s15, s18
	s_add_i32 s1, s3, s1
	s_ashr_i32 s3, s2, 31
	s_lshl_b64 s[0:1], s[0:1], 3
	v_cmp_gt_i64_e32 vcc_lo, s[2:3], v[0:1]
	s_add_u32 s0, s16, s0
	s_addc_u32 s1, s17, s1
	s_load_b64 s[0:1], s[0:1], 0x0
	s_waitcnt lgkmcnt(0)
	s_or_b32 s4, s0, s1
	s_delay_alu instid0(SALU_CYCLE_1) | instskip(NEXT) | instid1(SALU_CYCLE_1)
	s_bitset0_b32 s4, 31
	s_cmp_lg_u32 s4, 0
	s_cselect_b32 s2, -1, 0
	s_delay_alu instid0(SALU_CYCLE_1) | instskip(NEXT) | instid1(SALU_CYCLE_1)
	s_and_b32 s2, vcc_lo, s2
	s_and_saveexec_b32 s3, s2
	s_cbranch_execz .LBB37_2
; %bb.1:
	s_mul_i32 s3, s15, s25
	s_mul_hi_u32 s4, s15, s24
	s_mul_i32 s2, s15, s24
	s_add_i32 s3, s4, s3
	v_lshlrev_b64 v[0:1], 3, v[0:1]
	s_lshl_b64 s[2:3], s[2:3], 3
	s_mul_hi_u32 s6, s15, s30
	s_add_u32 s4, s20, s2
	s_addc_u32 s5, s21, s3
	s_lshl_b64 s[2:3], s[22:23], 3
	s_delay_alu instid0(SALU_CYCLE_1)
	s_add_u32 s4, s2, s4
	s_mul_i32 s2, s15, s31
	s_addc_u32 s5, s3, s5
	v_add_co_u32 v2, vcc_lo, s4, v0
	s_add_i32 s3, s6, s2
	s_mul_i32 s2, s15, s30
	v_add_co_ci_u32_e32 v3, vcc_lo, s5, v1, vcc_lo
	s_lshl_b64 s[2:3], s[2:3], 3
	s_delay_alu instid0(SALU_CYCLE_1)
	s_add_u32 s4, s26, s2
	s_addc_u32 s5, s27, s3
	s_lshl_b64 s[2:3], s[28:29], 3
	global_load_b64 v[2:3], v[2:3], off
	s_add_u32 s2, s2, s4
	s_addc_u32 s3, s3, s5
	v_add_co_u32 v0, vcc_lo, s2, v0
	v_add_co_ci_u32_e32 v1, vcc_lo, s3, v1, vcc_lo
	global_load_b64 v[4:5], v[0:1], off
	s_waitcnt vmcnt(1)
	v_mul_f32_e32 v6, s1, v3
	v_mul_f32_e32 v3, s0, v3
	s_delay_alu instid0(VALU_DEP_1) | instskip(NEXT) | instid1(VALU_DEP_3)
	v_fmac_f32_e32 v3, s1, v2
	v_fma_f32 v6, v2, s0, -v6
	s_waitcnt vmcnt(0)
	s_delay_alu instid0(VALU_DEP_1)
	v_dual_add_f32 v3, v5, v3 :: v_dual_add_f32 v2, v4, v6
	global_store_b64 v[0:1], v[2:3], off
.LBB37_2:
	s_nop 0
	s_sendmsg sendmsg(MSG_DEALLOC_VGPRS)
	s_endpgm
	.section	.rodata,"a",@progbits
	.p2align	6, 0x0
	.amdhsa_kernel _ZL26rocblas_haxpy_mod_8_kernelILi256EPK19rocblas_complex_numIfES3_PS1_EviT0_lT1_llT2_lli
		.amdhsa_group_segment_fixed_size 0
		.amdhsa_private_segment_fixed_size 0
		.amdhsa_kernarg_size 76
		.amdhsa_user_sgpr_count 14
		.amdhsa_user_sgpr_dispatch_ptr 0
		.amdhsa_user_sgpr_queue_ptr 0
		.amdhsa_user_sgpr_kernarg_segment_ptr 1
		.amdhsa_user_sgpr_dispatch_id 0
		.amdhsa_user_sgpr_private_segment_size 0
		.amdhsa_wavefront_size32 1
		.amdhsa_uses_dynamic_stack 0
		.amdhsa_enable_private_segment 0
		.amdhsa_system_sgpr_workgroup_id_x 1
		.amdhsa_system_sgpr_workgroup_id_y 0
		.amdhsa_system_sgpr_workgroup_id_z 1
		.amdhsa_system_sgpr_workgroup_info 0
		.amdhsa_system_vgpr_workitem_id 0
		.amdhsa_next_free_vgpr 7
		.amdhsa_next_free_sgpr 32
		.amdhsa_reserve_vcc 1
		.amdhsa_float_round_mode_32 0
		.amdhsa_float_round_mode_16_64 0
		.amdhsa_float_denorm_mode_32 3
		.amdhsa_float_denorm_mode_16_64 3
		.amdhsa_dx10_clamp 1
		.amdhsa_ieee_mode 1
		.amdhsa_fp16_overflow 0
		.amdhsa_workgroup_processor_mode 1
		.amdhsa_memory_ordered 1
		.amdhsa_forward_progress 0
		.amdhsa_shared_vgpr_count 0
		.amdhsa_exception_fp_ieee_invalid_op 0
		.amdhsa_exception_fp_denorm_src 0
		.amdhsa_exception_fp_ieee_div_zero 0
		.amdhsa_exception_fp_ieee_overflow 0
		.amdhsa_exception_fp_ieee_underflow 0
		.amdhsa_exception_fp_ieee_inexact 0
		.amdhsa_exception_int_div_zero 0
	.end_amdhsa_kernel
	.section	.text._ZL26rocblas_haxpy_mod_8_kernelILi256EPK19rocblas_complex_numIfES3_PS1_EviT0_lT1_llT2_lli,"axG",@progbits,_ZL26rocblas_haxpy_mod_8_kernelILi256EPK19rocblas_complex_numIfES3_PS1_EviT0_lT1_llT2_lli,comdat
.Lfunc_end37:
	.size	_ZL26rocblas_haxpy_mod_8_kernelILi256EPK19rocblas_complex_numIfES3_PS1_EviT0_lT1_llT2_lli, .Lfunc_end37-_ZL26rocblas_haxpy_mod_8_kernelILi256EPK19rocblas_complex_numIfES3_PS1_EviT0_lT1_llT2_lli
                                        ; -- End function
	.section	.AMDGPU.csdata,"",@progbits
; Kernel info:
; codeLenInByte = 320
; NumSgprs: 34
; NumVgprs: 7
; ScratchSize: 0
; MemoryBound: 0
; FloatMode: 240
; IeeeMode: 1
; LDSByteSize: 0 bytes/workgroup (compile time only)
; SGPRBlocks: 4
; VGPRBlocks: 0
; NumSGPRsForWavesPerEU: 34
; NumVGPRsForWavesPerEU: 7
; Occupancy: 16
; WaveLimiterHint : 0
; COMPUTE_PGM_RSRC2:SCRATCH_EN: 0
; COMPUTE_PGM_RSRC2:USER_SGPR: 14
; COMPUTE_PGM_RSRC2:TRAP_HANDLER: 0
; COMPUTE_PGM_RSRC2:TGID_X_EN: 1
; COMPUTE_PGM_RSRC2:TGID_Y_EN: 0
; COMPUTE_PGM_RSRC2:TGID_Z_EN: 1
; COMPUTE_PGM_RSRC2:TIDIG_COMP_CNT: 0
	.section	.text._ZL26rocblas_haxpy_mlt_8_kernelILi256EDF16_PK19rocblas_complex_numIfEPS1_EviT0_lT1_llT2_lli,"axG",@progbits,_ZL26rocblas_haxpy_mlt_8_kernelILi256EDF16_PK19rocblas_complex_numIfEPS1_EviT0_lT1_llT2_lli,comdat
	.globl	_ZL26rocblas_haxpy_mlt_8_kernelILi256EDF16_PK19rocblas_complex_numIfEPS1_EviT0_lT1_llT2_lli ; -- Begin function _ZL26rocblas_haxpy_mlt_8_kernelILi256EDF16_PK19rocblas_complex_numIfEPS1_EviT0_lT1_llT2_lli
	.p2align	8
	.type	_ZL26rocblas_haxpy_mlt_8_kernelILi256EDF16_PK19rocblas_complex_numIfEPS1_EviT0_lT1_llT2_lli,@function
_ZL26rocblas_haxpy_mlt_8_kernelILi256EDF16_PK19rocblas_complex_numIfEPS1_EviT0_lT1_llT2_lli: ; @_ZL26rocblas_haxpy_mlt_8_kernelILi256EDF16_PK19rocblas_complex_numIfEPS1_EviT0_lT1_llT2_lli
; %bb.0:
	s_load_b64 s[2:3], s[0:1], 0x0
	s_waitcnt lgkmcnt(0)
	s_pack_ll_b32_b16 s4, s3, s3
	s_delay_alu instid0(SALU_CYCLE_1) | instskip(NEXT) | instid1(SALU_CYCLE_1)
	s_and_b32 s4, s4, 0x7fff
	s_cmp_eq_u32 s4, 0
	s_cbranch_scc1 .LBB38_3
; %bb.1:
	v_lshl_or_b32 v0, s14, 8, v0
	v_mov_b32_e32 v1, 0
	s_ashr_i32 s5, s2, 31
	s_mov_b32 s4, s2
	s_mov_b32 s2, exec_lo
	s_delay_alu instid0(VALU_DEP_1) | instskip(NEXT) | instid1(VALU_DEP_1)
	v_lshlrev_b64 v[0:1], 3, v[0:1]
	v_cmpx_gt_i64_e64 s[4:5], v[0:1]
	s_cbranch_execz .LBB38_3
; %bb.2:
	s_clause 0x1
	s_load_b256 s[4:11], s[0:1], 0x10
	s_load_b128 s[16:19], s[0:1], 0x30
	v_lshlrev_b64 v[0:1], 3, v[0:1]
	s_waitcnt lgkmcnt(0)
	s_mul_i32 s1, s15, s9
	s_mul_hi_u32 s2, s15, s8
	s_mul_i32 s0, s15, s8
	s_add_i32 s1, s2, s1
	s_mul_i32 s2, s15, s19
	s_lshl_b64 s[0:1], s[0:1], 3
	s_mul_hi_u32 s8, s15, s18
	s_add_u32 s9, s4, s0
	s_addc_u32 s5, s5, s1
	s_lshl_b64 s[0:1], s[6:7], 3
	s_mul_i32 s4, s15, s18
	s_add_u32 s6, s0, s9
	s_addc_u32 s7, s1, s5
	s_add_i32 s5, s8, s2
	v_add_co_u32 v2, vcc_lo, s6, v0
	s_lshl_b64 s[0:1], s[4:5], 3
	v_add_co_ci_u32_e32 v3, vcc_lo, s7, v1, vcc_lo
	s_add_u32 s2, s10, s0
	s_addc_u32 s4, s11, s1
	s_lshl_b64 s[0:1], s[16:17], 3
	s_delay_alu instid0(SALU_CYCLE_1)
	s_add_u32 s0, s0, s2
	s_addc_u32 s1, s1, s4
	v_add_co_u32 v8, vcc_lo, s0, v0
	v_add_co_ci_u32_e32 v9, vcc_lo, s1, v1, vcc_lo
	global_load_b128 v[0:3], v[2:3], off
	global_load_b128 v[4:7], v[8:9], off
	s_waitcnt vmcnt(0)
	v_pk_fma_f16 v3, s3, v3, v7 op_sel_hi:[0,1,1]
	v_pk_fma_f16 v2, s3, v2, v6 op_sel_hi:[0,1,1]
	;; [unrolled: 1-line block ×4, first 2 shown]
	global_store_b128 v[8:9], v[0:3], off
.LBB38_3:
	s_nop 0
	s_sendmsg sendmsg(MSG_DEALLOC_VGPRS)
	s_endpgm
	.section	.rodata,"a",@progbits
	.p2align	6, 0x0
	.amdhsa_kernel _ZL26rocblas_haxpy_mlt_8_kernelILi256EDF16_PK19rocblas_complex_numIfEPS1_EviT0_lT1_llT2_lli
		.amdhsa_group_segment_fixed_size 0
		.amdhsa_private_segment_fixed_size 0
		.amdhsa_kernarg_size 68
		.amdhsa_user_sgpr_count 14
		.amdhsa_user_sgpr_dispatch_ptr 0
		.amdhsa_user_sgpr_queue_ptr 0
		.amdhsa_user_sgpr_kernarg_segment_ptr 1
		.amdhsa_user_sgpr_dispatch_id 0
		.amdhsa_user_sgpr_private_segment_size 0
		.amdhsa_wavefront_size32 1
		.amdhsa_uses_dynamic_stack 0
		.amdhsa_enable_private_segment 0
		.amdhsa_system_sgpr_workgroup_id_x 1
		.amdhsa_system_sgpr_workgroup_id_y 0
		.amdhsa_system_sgpr_workgroup_id_z 1
		.amdhsa_system_sgpr_workgroup_info 0
		.amdhsa_system_vgpr_workitem_id 0
		.amdhsa_next_free_vgpr 10
		.amdhsa_next_free_sgpr 20
		.amdhsa_reserve_vcc 1
		.amdhsa_float_round_mode_32 0
		.amdhsa_float_round_mode_16_64 0
		.amdhsa_float_denorm_mode_32 3
		.amdhsa_float_denorm_mode_16_64 3
		.amdhsa_dx10_clamp 1
		.amdhsa_ieee_mode 1
		.amdhsa_fp16_overflow 0
		.amdhsa_workgroup_processor_mode 1
		.amdhsa_memory_ordered 1
		.amdhsa_forward_progress 0
		.amdhsa_shared_vgpr_count 0
		.amdhsa_exception_fp_ieee_invalid_op 0
		.amdhsa_exception_fp_denorm_src 0
		.amdhsa_exception_fp_ieee_div_zero 0
		.amdhsa_exception_fp_ieee_overflow 0
		.amdhsa_exception_fp_ieee_underflow 0
		.amdhsa_exception_fp_ieee_inexact 0
		.amdhsa_exception_int_div_zero 0
	.end_amdhsa_kernel
	.section	.text._ZL26rocblas_haxpy_mlt_8_kernelILi256EDF16_PK19rocblas_complex_numIfEPS1_EviT0_lT1_llT2_lli,"axG",@progbits,_ZL26rocblas_haxpy_mlt_8_kernelILi256EDF16_PK19rocblas_complex_numIfEPS1_EviT0_lT1_llT2_lli,comdat
.Lfunc_end38:
	.size	_ZL26rocblas_haxpy_mlt_8_kernelILi256EDF16_PK19rocblas_complex_numIfEPS1_EviT0_lT1_llT2_lli, .Lfunc_end38-_ZL26rocblas_haxpy_mlt_8_kernelILi256EDF16_PK19rocblas_complex_numIfEPS1_EviT0_lT1_llT2_lli
                                        ; -- End function
	.section	.AMDGPU.csdata,"",@progbits
; Kernel info:
; codeLenInByte = 296
; NumSgprs: 22
; NumVgprs: 10
; ScratchSize: 0
; MemoryBound: 0
; FloatMode: 240
; IeeeMode: 1
; LDSByteSize: 0 bytes/workgroup (compile time only)
; SGPRBlocks: 2
; VGPRBlocks: 1
; NumSGPRsForWavesPerEU: 22
; NumVGPRsForWavesPerEU: 10
; Occupancy: 16
; WaveLimiterHint : 0
; COMPUTE_PGM_RSRC2:SCRATCH_EN: 0
; COMPUTE_PGM_RSRC2:USER_SGPR: 14
; COMPUTE_PGM_RSRC2:TRAP_HANDLER: 0
; COMPUTE_PGM_RSRC2:TGID_X_EN: 1
; COMPUTE_PGM_RSRC2:TGID_Y_EN: 0
; COMPUTE_PGM_RSRC2:TGID_Z_EN: 1
; COMPUTE_PGM_RSRC2:TIDIG_COMP_CNT: 0
	.section	.text._ZL26rocblas_haxpy_mod_8_kernelILi256E19rocblas_complex_numIfEPKS1_PS1_EviT0_lT1_llT2_lli,"axG",@progbits,_ZL26rocblas_haxpy_mod_8_kernelILi256E19rocblas_complex_numIfEPKS1_PS1_EviT0_lT1_llT2_lli,comdat
	.globl	_ZL26rocblas_haxpy_mod_8_kernelILi256E19rocblas_complex_numIfEPKS1_PS1_EviT0_lT1_llT2_lli ; -- Begin function _ZL26rocblas_haxpy_mod_8_kernelILi256E19rocblas_complex_numIfEPKS1_PS1_EviT0_lT1_llT2_lli
	.p2align	8
	.type	_ZL26rocblas_haxpy_mod_8_kernelILi256E19rocblas_complex_numIfEPKS1_PS1_EviT0_lT1_llT2_lli,@function
_ZL26rocblas_haxpy_mod_8_kernelILi256E19rocblas_complex_numIfEPKS1_PS1_EviT0_lT1_llT2_lli: ; @_ZL26rocblas_haxpy_mod_8_kernelILi256E19rocblas_complex_numIfEPKS1_PS1_EviT0_lT1_llT2_lli
; %bb.0:
	s_load_b128 s[16:19], s[0:1], 0x0
	v_mov_b32_e32 v1, 0
	v_lshl_or_b32 v0, s14, 8, v0
	s_waitcnt lgkmcnt(0)
	s_or_b32 s2, s17, s18
	s_delay_alu instid0(SALU_CYCLE_1) | instskip(NEXT) | instid1(SALU_CYCLE_1)
	s_bitset0_b32 s2, 31
	s_cmp_lg_u32 s2, 0
	s_mov_b32 s2, s16
	s_cselect_b32 s4, -1, 0
	s_ashr_i32 s3, s16, 31
	s_delay_alu instid0(SALU_CYCLE_1) | instskip(SKIP_1) | instid1(SALU_CYCLE_1)
	v_cmp_gt_i64_e32 vcc_lo, s[2:3], v[0:1]
	s_and_b32 s2, vcc_lo, s4
	s_and_saveexec_b32 s3, s2
	s_cbranch_execz .LBB39_2
; %bb.1:
	s_clause 0x1
	s_load_b256 s[4:11], s[0:1], 0x18
	s_load_b128 s[0:3], s[0:1], 0x38
	v_lshlrev_b64 v[0:1], 3, v[0:1]
	s_waitcnt lgkmcnt(0)
	s_mul_i32 s9, s15, s9
	s_mul_hi_u32 s12, s15, s8
	s_mul_i32 s8, s15, s8
	s_add_i32 s9, s12, s9
	s_mul_i32 s3, s15, s3
	s_lshl_b64 s[8:9], s[8:9], 3
	s_mul_hi_u32 s12, s15, s2
	s_add_u32 s8, s4, s8
	s_addc_u32 s9, s5, s9
	s_lshl_b64 s[4:5], s[6:7], 3
	s_mul_i32 s2, s15, s2
	s_add_u32 s4, s4, s8
	s_addc_u32 s5, s5, s9
	v_add_co_u32 v2, vcc_lo, s4, v0
	s_add_i32 s3, s12, s3
	v_add_co_ci_u32_e32 v3, vcc_lo, s5, v1, vcc_lo
	s_lshl_b64 s[2:3], s[2:3], 3
	s_delay_alu instid0(SALU_CYCLE_1)
	s_add_u32 s2, s10, s2
	s_addc_u32 s3, s11, s3
	s_lshl_b64 s[0:1], s[0:1], 3
	global_load_b64 v[2:3], v[2:3], off
	s_add_u32 s0, s0, s2
	s_addc_u32 s1, s1, s3
	v_add_co_u32 v0, vcc_lo, s0, v0
	v_add_co_ci_u32_e32 v1, vcc_lo, s1, v1, vcc_lo
	global_load_b64 v[4:5], v[0:1], off
	s_waitcnt vmcnt(1)
	v_mul_f32_e32 v6, s18, v3
	v_mul_f32_e32 v3, s17, v3
	s_delay_alu instid0(VALU_DEP_1) | instskip(NEXT) | instid1(VALU_DEP_3)
	v_fmac_f32_e32 v3, s18, v2
	v_fma_f32 v6, v2, s17, -v6
	s_waitcnt vmcnt(0)
	s_delay_alu instid0(VALU_DEP_1)
	v_dual_add_f32 v3, v5, v3 :: v_dual_add_f32 v2, v4, v6
	global_store_b64 v[0:1], v[2:3], off
.LBB39_2:
	s_nop 0
	s_sendmsg sendmsg(MSG_DEALLOC_VGPRS)
	s_endpgm
	.section	.rodata,"a",@progbits
	.p2align	6, 0x0
	.amdhsa_kernel _ZL26rocblas_haxpy_mod_8_kernelILi256E19rocblas_complex_numIfEPKS1_PS1_EviT0_lT1_llT2_lli
		.amdhsa_group_segment_fixed_size 0
		.amdhsa_private_segment_fixed_size 0
		.amdhsa_kernarg_size 76
		.amdhsa_user_sgpr_count 14
		.amdhsa_user_sgpr_dispatch_ptr 0
		.amdhsa_user_sgpr_queue_ptr 0
		.amdhsa_user_sgpr_kernarg_segment_ptr 1
		.amdhsa_user_sgpr_dispatch_id 0
		.amdhsa_user_sgpr_private_segment_size 0
		.amdhsa_wavefront_size32 1
		.amdhsa_uses_dynamic_stack 0
		.amdhsa_enable_private_segment 0
		.amdhsa_system_sgpr_workgroup_id_x 1
		.amdhsa_system_sgpr_workgroup_id_y 0
		.amdhsa_system_sgpr_workgroup_id_z 1
		.amdhsa_system_sgpr_workgroup_info 0
		.amdhsa_system_vgpr_workitem_id 0
		.amdhsa_next_free_vgpr 7
		.amdhsa_next_free_sgpr 20
		.amdhsa_reserve_vcc 1
		.amdhsa_float_round_mode_32 0
		.amdhsa_float_round_mode_16_64 0
		.amdhsa_float_denorm_mode_32 3
		.amdhsa_float_denorm_mode_16_64 3
		.amdhsa_dx10_clamp 1
		.amdhsa_ieee_mode 1
		.amdhsa_fp16_overflow 0
		.amdhsa_workgroup_processor_mode 1
		.amdhsa_memory_ordered 1
		.amdhsa_forward_progress 0
		.amdhsa_shared_vgpr_count 0
		.amdhsa_exception_fp_ieee_invalid_op 0
		.amdhsa_exception_fp_denorm_src 0
		.amdhsa_exception_fp_ieee_div_zero 0
		.amdhsa_exception_fp_ieee_overflow 0
		.amdhsa_exception_fp_ieee_underflow 0
		.amdhsa_exception_fp_ieee_inexact 0
		.amdhsa_exception_int_div_zero 0
	.end_amdhsa_kernel
	.section	.text._ZL26rocblas_haxpy_mod_8_kernelILi256E19rocblas_complex_numIfEPKS1_PS1_EviT0_lT1_llT2_lli,"axG",@progbits,_ZL26rocblas_haxpy_mod_8_kernelILi256E19rocblas_complex_numIfEPKS1_PS1_EviT0_lT1_llT2_lli,comdat
.Lfunc_end39:
	.size	_ZL26rocblas_haxpy_mod_8_kernelILi256E19rocblas_complex_numIfEPKS1_PS1_EviT0_lT1_llT2_lli, .Lfunc_end39-_ZL26rocblas_haxpy_mod_8_kernelILi256E19rocblas_complex_numIfEPKS1_PS1_EviT0_lT1_llT2_lli
                                        ; -- End function
	.section	.AMDGPU.csdata,"",@progbits
; Kernel info:
; codeLenInByte = 292
; NumSgprs: 22
; NumVgprs: 7
; ScratchSize: 0
; MemoryBound: 0
; FloatMode: 240
; IeeeMode: 1
; LDSByteSize: 0 bytes/workgroup (compile time only)
; SGPRBlocks: 2
; VGPRBlocks: 0
; NumSGPRsForWavesPerEU: 22
; NumVGPRsForWavesPerEU: 7
; Occupancy: 16
; WaveLimiterHint : 0
; COMPUTE_PGM_RSRC2:SCRATCH_EN: 0
; COMPUTE_PGM_RSRC2:USER_SGPR: 14
; COMPUTE_PGM_RSRC2:TRAP_HANDLER: 0
; COMPUTE_PGM_RSRC2:TGID_X_EN: 1
; COMPUTE_PGM_RSRC2:TGID_Y_EN: 0
; COMPUTE_PGM_RSRC2:TGID_Z_EN: 1
; COMPUTE_PGM_RSRC2:TIDIG_COMP_CNT: 0
	.section	.text._ZL22rocblas_saxpy_2_kernelILi256E19rocblas_complex_numIfEPKS1_S3_PS1_EviT1_lT2_llT3_lli,"axG",@progbits,_ZL22rocblas_saxpy_2_kernelILi256E19rocblas_complex_numIfEPKS1_S3_PS1_EviT1_lT2_llT3_lli,comdat
	.globl	_ZL22rocblas_saxpy_2_kernelILi256E19rocblas_complex_numIfEPKS1_S3_PS1_EviT1_lT2_llT3_lli ; -- Begin function _ZL22rocblas_saxpy_2_kernelILi256E19rocblas_complex_numIfEPKS1_S3_PS1_EviT1_lT2_llT3_lli
	.p2align	8
	.type	_ZL22rocblas_saxpy_2_kernelILi256E19rocblas_complex_numIfEPKS1_S3_PS1_EviT1_lT2_llT3_lli,@function
_ZL22rocblas_saxpy_2_kernelILi256E19rocblas_complex_numIfEPKS1_S3_PS1_EviT1_lT2_llT3_lli: ; @_ZL22rocblas_saxpy_2_kernelILi256E19rocblas_complex_numIfEPKS1_S3_PS1_EviT1_lT2_llT3_lli
; %bb.0:
	s_load_b128 s[4:7], s[0:1], 0x8
	s_waitcnt lgkmcnt(0)
	s_mul_i32 s2, s15, s7
	s_mul_hi_u32 s3, s15, s6
	s_delay_alu instid0(SALU_CYCLE_1) | instskip(SKIP_1) | instid1(SALU_CYCLE_1)
	s_add_i32 s3, s3, s2
	s_mul_i32 s2, s15, s6
	s_lshl_b64 s[2:3], s[2:3], 3
	s_delay_alu instid0(SALU_CYCLE_1) | instskip(SKIP_4) | instid1(SALU_CYCLE_1)
	s_add_u32 s2, s4, s2
	s_addc_u32 s3, s5, s3
	s_load_b64 s[2:3], s[2:3], 0x0
	s_waitcnt lgkmcnt(0)
	s_or_b32 s4, s2, s3
	s_bitset0_b32 s4, 31
	s_delay_alu instid0(SALU_CYCLE_1)
	s_cmp_eq_u32 s4, 0
	s_cbranch_scc1 .LBB40_5
; %bb.1:
	s_clause 0x4
	s_load_b128 s[8:11], s[0:1], 0x20
	s_load_b128 s[16:19], s[0:1], 0x38
	s_load_b64 s[6:7], s[0:1], 0x18
	s_load_b64 s[12:13], s[0:1], 0x30
	s_load_b32 s4, s[0:1], 0x0
	v_dual_mov_b32 v3, 0 :: v_dual_lshlrev_b32 v0, 1, v0
	s_delay_alu instid0(VALU_DEP_1) | instskip(NEXT) | instid1(VALU_DEP_1)
	v_lshl_or_b32 v2, s14, 9, v0
	v_lshlrev_b64 v[0:1], 3, v[2:3]
	s_waitcnt lgkmcnt(0)
	s_mul_i32 s1, s15, s11
	s_mul_hi_u32 s5, s15, s10
	s_mul_i32 s0, s15, s10
	s_add_i32 s1, s5, s1
	s_mul_i32 s10, s15, s19
	s_lshl_b64 s[0:1], s[0:1], 3
	s_mul_hi_u32 s11, s15, s18
	s_add_u32 s5, s6, s0
	s_addc_u32 s6, s7, s1
	s_lshl_b64 s[0:1], s[8:9], 3
	s_mul_i32 s8, s15, s18
	s_add_u32 s5, s5, s0
	s_addc_u32 s6, s6, s1
	s_add_i32 s9, s11, s10
	s_delay_alu instid0(SALU_CYCLE_1) | instskip(SKIP_4) | instid1(SALU_CYCLE_1)
	s_lshl_b64 s[0:1], s[8:9], 3
	s_mov_b32 s9, exec_lo
	s_add_u32 s7, s12, s0
	s_addc_u32 s8, s13, s1
	s_lshl_b64 s[0:1], s[16:17], 3
	s_add_u32 s7, s7, s0
	s_addc_u32 s8, s8, s1
	s_add_i32 s0, s4, -1
	s_delay_alu instid0(SALU_CYCLE_1) | instskip(NEXT) | instid1(SALU_CYCLE_1)
	s_ashr_i32 s1, s0, 31
	v_cmpx_gt_i64_e64 s[0:1], v[2:3]
	s_cbranch_execz .LBB40_3
; %bb.2:
	v_add_co_u32 v4, vcc_lo, s5, v0
	v_add_co_ci_u32_e32 v5, vcc_lo, s6, v1, vcc_lo
	v_add_co_u32 v12, vcc_lo, s7, v0
	v_add_co_ci_u32_e32 v13, vcc_lo, s8, v1, vcc_lo
	global_load_b128 v[4:7], v[4:5], off
	global_load_b128 v[8:11], v[12:13], off
	s_waitcnt vmcnt(1)
	v_dual_mul_f32 v14, s3, v5 :: v_dual_mul_f32 v15, s3, v7
	s_delay_alu instid0(VALU_DEP_1) | instskip(SKIP_1) | instid1(VALU_DEP_3)
	v_fma_f32 v14, v4, s2, -v14
	v_mul_f32_e32 v5, s2, v5
	v_fma_f32 v15, v6, s2, -v15
	v_mul_f32_e32 v7, s2, v7
	s_delay_alu instid0(VALU_DEP_3) | instskip(SKIP_1) | instid1(VALU_DEP_2)
	v_fmac_f32_e32 v5, s3, v4
	s_waitcnt vmcnt(0)
	v_dual_add_f32 v4, v14, v8 :: v_dual_fmac_f32 v7, s3, v6
	s_delay_alu instid0(VALU_DEP_2) | instskip(NEXT) | instid1(VALU_DEP_2)
	v_dual_add_f32 v6, v15, v10 :: v_dual_add_f32 v5, v5, v9
	v_add_f32_e32 v7, v7, v11
	global_store_b128 v[12:13], v[4:7], off
.LBB40_3:
	s_or_b32 exec_lo, exec_lo, s9
	v_cmp_eq_u64_e32 vcc_lo, s[0:1], v[2:3]
	s_bitcmp1_b32 s4, 0
	s_cselect_b32 s0, -1, 0
	s_delay_alu instid0(SALU_CYCLE_1) | instskip(NEXT) | instid1(SALU_CYCLE_1)
	s_and_b32 s0, s0, vcc_lo
	s_and_saveexec_b32 s1, s0
	s_cbranch_execz .LBB40_5
; %bb.4:
	v_add_co_u32 v2, vcc_lo, s5, v0
	v_add_co_ci_u32_e32 v3, vcc_lo, s6, v1, vcc_lo
	v_add_co_u32 v0, vcc_lo, s7, v0
	v_add_co_ci_u32_e32 v1, vcc_lo, s8, v1, vcc_lo
	global_load_b64 v[2:3], v[2:3], off
	global_load_b64 v[4:5], v[0:1], off
	s_waitcnt vmcnt(1)
	v_mul_f32_e32 v6, s3, v3
	v_mul_f32_e32 v3, s2, v3
	s_delay_alu instid0(VALU_DEP_1) | instskip(NEXT) | instid1(VALU_DEP_3)
	v_fmac_f32_e32 v3, s3, v2
	v_fma_f32 v6, v2, s2, -v6
	s_waitcnt vmcnt(0)
	s_delay_alu instid0(VALU_DEP_1)
	v_dual_add_f32 v3, v3, v5 :: v_dual_add_f32 v2, v6, v4
	global_store_b64 v[0:1], v[2:3], off
.LBB40_5:
	s_nop 0
	s_sendmsg sendmsg(MSG_DEALLOC_VGPRS)
	s_endpgm
	.section	.rodata,"a",@progbits
	.p2align	6, 0x0
	.amdhsa_kernel _ZL22rocblas_saxpy_2_kernelILi256E19rocblas_complex_numIfEPKS1_S3_PS1_EviT1_lT2_llT3_lli
		.amdhsa_group_segment_fixed_size 0
		.amdhsa_private_segment_fixed_size 0
		.amdhsa_kernarg_size 76
		.amdhsa_user_sgpr_count 14
		.amdhsa_user_sgpr_dispatch_ptr 0
		.amdhsa_user_sgpr_queue_ptr 0
		.amdhsa_user_sgpr_kernarg_segment_ptr 1
		.amdhsa_user_sgpr_dispatch_id 0
		.amdhsa_user_sgpr_private_segment_size 0
		.amdhsa_wavefront_size32 1
		.amdhsa_uses_dynamic_stack 0
		.amdhsa_enable_private_segment 0
		.amdhsa_system_sgpr_workgroup_id_x 1
		.amdhsa_system_sgpr_workgroup_id_y 0
		.amdhsa_system_sgpr_workgroup_id_z 1
		.amdhsa_system_sgpr_workgroup_info 0
		.amdhsa_system_vgpr_workitem_id 0
		.amdhsa_next_free_vgpr 16
		.amdhsa_next_free_sgpr 20
		.amdhsa_reserve_vcc 1
		.amdhsa_float_round_mode_32 0
		.amdhsa_float_round_mode_16_64 0
		.amdhsa_float_denorm_mode_32 3
		.amdhsa_float_denorm_mode_16_64 3
		.amdhsa_dx10_clamp 1
		.amdhsa_ieee_mode 1
		.amdhsa_fp16_overflow 0
		.amdhsa_workgroup_processor_mode 1
		.amdhsa_memory_ordered 1
		.amdhsa_forward_progress 0
		.amdhsa_shared_vgpr_count 0
		.amdhsa_exception_fp_ieee_invalid_op 0
		.amdhsa_exception_fp_denorm_src 0
		.amdhsa_exception_fp_ieee_div_zero 0
		.amdhsa_exception_fp_ieee_overflow 0
		.amdhsa_exception_fp_ieee_underflow 0
		.amdhsa_exception_fp_ieee_inexact 0
		.amdhsa_exception_int_div_zero 0
	.end_amdhsa_kernel
	.section	.text._ZL22rocblas_saxpy_2_kernelILi256E19rocblas_complex_numIfEPKS1_S3_PS1_EviT1_lT2_llT3_lli,"axG",@progbits,_ZL22rocblas_saxpy_2_kernelILi256E19rocblas_complex_numIfEPKS1_S3_PS1_EviT1_lT2_llT3_lli,comdat
.Lfunc_end40:
	.size	_ZL22rocblas_saxpy_2_kernelILi256E19rocblas_complex_numIfEPKS1_S3_PS1_EviT1_lT2_llT3_lli, .Lfunc_end40-_ZL22rocblas_saxpy_2_kernelILi256E19rocblas_complex_numIfEPKS1_S3_PS1_EviT1_lT2_llT3_lli
                                        ; -- End function
	.section	.AMDGPU.csdata,"",@progbits
; Kernel info:
; codeLenInByte = 528
; NumSgprs: 22
; NumVgprs: 16
; ScratchSize: 0
; MemoryBound: 0
; FloatMode: 240
; IeeeMode: 1
; LDSByteSize: 0 bytes/workgroup (compile time only)
; SGPRBlocks: 2
; VGPRBlocks: 1
; NumSGPRsForWavesPerEU: 22
; NumVGPRsForWavesPerEU: 16
; Occupancy: 16
; WaveLimiterHint : 0
; COMPUTE_PGM_RSRC2:SCRATCH_EN: 0
; COMPUTE_PGM_RSRC2:USER_SGPR: 14
; COMPUTE_PGM_RSRC2:TRAP_HANDLER: 0
; COMPUTE_PGM_RSRC2:TGID_X_EN: 1
; COMPUTE_PGM_RSRC2:TGID_Y_EN: 0
; COMPUTE_PGM_RSRC2:TGID_Z_EN: 1
; COMPUTE_PGM_RSRC2:TIDIG_COMP_CNT: 0
	.section	.text._ZL22rocblas_saxpy_2_kernelILi256E19rocblas_complex_numIfES1_PKS1_PS1_EviT1_lT2_llT3_lli,"axG",@progbits,_ZL22rocblas_saxpy_2_kernelILi256E19rocblas_complex_numIfES1_PKS1_PS1_EviT1_lT2_llT3_lli,comdat
	.globl	_ZL22rocblas_saxpy_2_kernelILi256E19rocblas_complex_numIfES1_PKS1_PS1_EviT1_lT2_llT3_lli ; -- Begin function _ZL22rocblas_saxpy_2_kernelILi256E19rocblas_complex_numIfES1_PKS1_PS1_EviT1_lT2_llT3_lli
	.p2align	8
	.type	_ZL22rocblas_saxpy_2_kernelILi256E19rocblas_complex_numIfES1_PKS1_PS1_EviT1_lT2_llT3_lli,@function
_ZL22rocblas_saxpy_2_kernelILi256E19rocblas_complex_numIfES1_PKS1_PS1_EviT1_lT2_llT3_lli: ; @_ZL22rocblas_saxpy_2_kernelILi256E19rocblas_complex_numIfES1_PKS1_PS1_EviT1_lT2_llT3_lli
; %bb.0:
	s_load_b128 s[4:7], s[0:1], 0x0
	s_waitcnt lgkmcnt(0)
	s_or_b32 s2, s5, s6
	s_delay_alu instid0(SALU_CYCLE_1) | instskip(NEXT) | instid1(SALU_CYCLE_1)
	s_bitset0_b32 s2, 31
	s_cmp_eq_u32 s2, 0
	s_cbranch_scc1 .LBB41_5
; %bb.1:
	s_clause 0x3
	s_load_b128 s[8:11], s[0:1], 0x20
	s_load_b128 s[16:19], s[0:1], 0x38
	s_load_b64 s[2:3], s[0:1], 0x18
	s_load_b64 s[0:1], s[0:1], 0x30
	v_dual_mov_b32 v3, 0 :: v_dual_lshlrev_b32 v0, 1, v0
	s_delay_alu instid0(VALU_DEP_1) | instskip(NEXT) | instid1(VALU_DEP_1)
	v_lshl_or_b32 v2, s14, 9, v0
	v_lshlrev_b64 v[0:1], 3, v[2:3]
	s_waitcnt lgkmcnt(0)
	s_mul_i32 s7, s15, s11
	s_mul_hi_u32 s11, s15, s10
	s_mul_i32 s10, s15, s10
	s_add_i32 s11, s11, s7
	s_mul_i32 s7, s15, s19
	s_lshl_b64 s[10:11], s[10:11], 3
	s_mul_hi_u32 s12, s15, s18
	s_add_u32 s10, s2, s10
	s_addc_u32 s11, s3, s11
	s_lshl_b64 s[2:3], s[8:9], 3
	s_mul_i32 s8, s15, s18
	s_add_u32 s2, s10, s2
	s_addc_u32 s3, s11, s3
	s_add_i32 s9, s12, s7
	s_delay_alu instid0(SALU_CYCLE_1) | instskip(NEXT) | instid1(SALU_CYCLE_1)
	s_lshl_b64 s[8:9], s[8:9], 3
	s_add_u32 s7, s0, s8
	s_addc_u32 s8, s1, s9
	s_lshl_b64 s[0:1], s[16:17], 3
	s_mov_b32 s9, exec_lo
	s_add_u32 s7, s7, s0
	s_addc_u32 s8, s8, s1
	s_add_i32 s0, s4, -1
	s_delay_alu instid0(SALU_CYCLE_1) | instskip(NEXT) | instid1(SALU_CYCLE_1)
	s_ashr_i32 s1, s0, 31
	v_cmpx_gt_i64_e64 s[0:1], v[2:3]
	s_cbranch_execz .LBB41_3
; %bb.2:
	v_add_co_u32 v4, vcc_lo, s2, v0
	v_add_co_ci_u32_e32 v5, vcc_lo, s3, v1, vcc_lo
	v_add_co_u32 v12, vcc_lo, s7, v0
	v_add_co_ci_u32_e32 v13, vcc_lo, s8, v1, vcc_lo
	global_load_b128 v[4:7], v[4:5], off
	global_load_b128 v[8:11], v[12:13], off
	s_waitcnt vmcnt(1)
	v_dual_mul_f32 v14, s6, v5 :: v_dual_mul_f32 v15, s6, v7
	s_delay_alu instid0(VALU_DEP_1) | instskip(SKIP_1) | instid1(VALU_DEP_3)
	v_fma_f32 v14, v4, s5, -v14
	v_mul_f32_e32 v5, s5, v5
	v_fma_f32 v15, v6, s5, -v15
	v_mul_f32_e32 v7, s5, v7
	s_delay_alu instid0(VALU_DEP_3) | instskip(SKIP_1) | instid1(VALU_DEP_2)
	v_fmac_f32_e32 v5, s6, v4
	s_waitcnt vmcnt(0)
	v_dual_add_f32 v4, v14, v8 :: v_dual_fmac_f32 v7, s6, v6
	s_delay_alu instid0(VALU_DEP_2) | instskip(NEXT) | instid1(VALU_DEP_2)
	v_dual_add_f32 v6, v15, v10 :: v_dual_add_f32 v5, v5, v9
	v_add_f32_e32 v7, v7, v11
	global_store_b128 v[12:13], v[4:7], off
.LBB41_3:
	s_or_b32 exec_lo, exec_lo, s9
	v_cmp_eq_u64_e32 vcc_lo, s[0:1], v[2:3]
	s_bitcmp1_b32 s4, 0
	s_cselect_b32 s0, -1, 0
	s_delay_alu instid0(SALU_CYCLE_1) | instskip(NEXT) | instid1(SALU_CYCLE_1)
	s_and_b32 s0, s0, vcc_lo
	s_and_saveexec_b32 s1, s0
	s_cbranch_execz .LBB41_5
; %bb.4:
	v_add_co_u32 v2, vcc_lo, s2, v0
	v_add_co_ci_u32_e32 v3, vcc_lo, s3, v1, vcc_lo
	v_add_co_u32 v0, vcc_lo, s7, v0
	v_add_co_ci_u32_e32 v1, vcc_lo, s8, v1, vcc_lo
	global_load_b64 v[2:3], v[2:3], off
	global_load_b64 v[4:5], v[0:1], off
	s_waitcnt vmcnt(1)
	v_mul_f32_e32 v6, s6, v3
	v_mul_f32_e32 v3, s5, v3
	s_delay_alu instid0(VALU_DEP_1) | instskip(NEXT) | instid1(VALU_DEP_3)
	v_fmac_f32_e32 v3, s6, v2
	v_fma_f32 v6, v2, s5, -v6
	s_waitcnt vmcnt(0)
	s_delay_alu instid0(VALU_DEP_1)
	v_dual_add_f32 v3, v3, v5 :: v_dual_add_f32 v2, v6, v4
	global_store_b64 v[0:1], v[2:3], off
.LBB41_5:
	s_nop 0
	s_sendmsg sendmsg(MSG_DEALLOC_VGPRS)
	s_endpgm
	.section	.rodata,"a",@progbits
	.p2align	6, 0x0
	.amdhsa_kernel _ZL22rocblas_saxpy_2_kernelILi256E19rocblas_complex_numIfES1_PKS1_PS1_EviT1_lT2_llT3_lli
		.amdhsa_group_segment_fixed_size 0
		.amdhsa_private_segment_fixed_size 0
		.amdhsa_kernarg_size 76
		.amdhsa_user_sgpr_count 14
		.amdhsa_user_sgpr_dispatch_ptr 0
		.amdhsa_user_sgpr_queue_ptr 0
		.amdhsa_user_sgpr_kernarg_segment_ptr 1
		.amdhsa_user_sgpr_dispatch_id 0
		.amdhsa_user_sgpr_private_segment_size 0
		.amdhsa_wavefront_size32 1
		.amdhsa_uses_dynamic_stack 0
		.amdhsa_enable_private_segment 0
		.amdhsa_system_sgpr_workgroup_id_x 1
		.amdhsa_system_sgpr_workgroup_id_y 0
		.amdhsa_system_sgpr_workgroup_id_z 1
		.amdhsa_system_sgpr_workgroup_info 0
		.amdhsa_system_vgpr_workitem_id 0
		.amdhsa_next_free_vgpr 16
		.amdhsa_next_free_sgpr 20
		.amdhsa_reserve_vcc 1
		.amdhsa_float_round_mode_32 0
		.amdhsa_float_round_mode_16_64 0
		.amdhsa_float_denorm_mode_32 3
		.amdhsa_float_denorm_mode_16_64 3
		.amdhsa_dx10_clamp 1
		.amdhsa_ieee_mode 1
		.amdhsa_fp16_overflow 0
		.amdhsa_workgroup_processor_mode 1
		.amdhsa_memory_ordered 1
		.amdhsa_forward_progress 0
		.amdhsa_shared_vgpr_count 0
		.amdhsa_exception_fp_ieee_invalid_op 0
		.amdhsa_exception_fp_denorm_src 0
		.amdhsa_exception_fp_ieee_div_zero 0
		.amdhsa_exception_fp_ieee_overflow 0
		.amdhsa_exception_fp_ieee_underflow 0
		.amdhsa_exception_fp_ieee_inexact 0
		.amdhsa_exception_int_div_zero 0
	.end_amdhsa_kernel
	.section	.text._ZL22rocblas_saxpy_2_kernelILi256E19rocblas_complex_numIfES1_PKS1_PS1_EviT1_lT2_llT3_lli,"axG",@progbits,_ZL22rocblas_saxpy_2_kernelILi256E19rocblas_complex_numIfES1_PKS1_PS1_EviT1_lT2_llT3_lli,comdat
.Lfunc_end41:
	.size	_ZL22rocblas_saxpy_2_kernelILi256E19rocblas_complex_numIfES1_PKS1_PS1_EviT1_lT2_llT3_lli, .Lfunc_end41-_ZL22rocblas_saxpy_2_kernelILi256E19rocblas_complex_numIfES1_PKS1_PS1_EviT1_lT2_llT3_lli
                                        ; -- End function
	.section	.AMDGPU.csdata,"",@progbits
; Kernel info:
; codeLenInByte = 472
; NumSgprs: 22
; NumVgprs: 16
; ScratchSize: 0
; MemoryBound: 0
; FloatMode: 240
; IeeeMode: 1
; LDSByteSize: 0 bytes/workgroup (compile time only)
; SGPRBlocks: 2
; VGPRBlocks: 1
; NumSGPRsForWavesPerEU: 22
; NumVGPRsForWavesPerEU: 16
; Occupancy: 16
; WaveLimiterHint : 0
; COMPUTE_PGM_RSRC2:SCRATCH_EN: 0
; COMPUTE_PGM_RSRC2:USER_SGPR: 14
; COMPUTE_PGM_RSRC2:TRAP_HANDLER: 0
; COMPUTE_PGM_RSRC2:TGID_X_EN: 1
; COMPUTE_PGM_RSRC2:TGID_Y_EN: 0
; COMPUTE_PGM_RSRC2:TGID_Z_EN: 1
; COMPUTE_PGM_RSRC2:TIDIG_COMP_CNT: 0
	.section	.text._ZL27rocblas_axpy_kernel_batchedIiLi128ELi8E19rocblas_complex_numIfEPKS1_S3_PS1_EviT3_lT4_lT_lT5_lS7_li,"axG",@progbits,_ZL27rocblas_axpy_kernel_batchedIiLi128ELi8E19rocblas_complex_numIfEPKS1_S3_PS1_EviT3_lT4_lT_lT5_lS7_li,comdat
	.globl	_ZL27rocblas_axpy_kernel_batchedIiLi128ELi8E19rocblas_complex_numIfEPKS1_S3_PS1_EviT3_lT4_lT_lT5_lS7_li ; -- Begin function _ZL27rocblas_axpy_kernel_batchedIiLi128ELi8E19rocblas_complex_numIfEPKS1_S3_PS1_EviT3_lT4_lT_lT5_lS7_li
	.p2align	8
	.type	_ZL27rocblas_axpy_kernel_batchedIiLi128ELi8E19rocblas_complex_numIfEPKS1_S3_PS1_EviT3_lT4_lT_lT5_lS7_li,@function
_ZL27rocblas_axpy_kernel_batchedIiLi128ELi8E19rocblas_complex_numIfEPKS1_S3_PS1_EviT3_lT4_lT_lT5_lS7_li: ; @_ZL27rocblas_axpy_kernel_batchedIiLi128ELi8E19rocblas_complex_numIfEPKS1_S3_PS1_EviT3_lT4_lT_lT5_lS7_li
; %bb.0:
	s_load_b32 s2, s[0:1], 0x0
	v_dual_mov_b32 v2, 0 :: v_dual_and_b32 v1, 0x3ff, v0
	s_delay_alu instid0(VALU_DEP_1)
	v_lshl_add_u32 v1, s14, 7, v1
	s_waitcnt lgkmcnt(0)
	s_ashr_i32 s3, s2, 31
	s_delay_alu instid0(VALU_DEP_1) | instid1(SALU_CYCLE_1)
	v_cmp_gt_i64_e32 vcc_lo, s[2:3], v[1:2]
	s_and_saveexec_b32 s2, vcc_lo
	s_cbranch_execz .LBB42_13
; %bb.1:
	s_clause 0x6
	s_load_b32 s13, s[0:1], 0x28
	s_load_b32 s14, s[0:1], 0x48
	s_load_b256 s[4:11], s[0:1], 0x8
	s_load_b128 s[16:19], s[0:1], 0x30
	s_load_b64 s[2:3], s[0:1], 0x50
	s_load_b32 s12, s[0:1], 0x58
	s_load_b64 s[0:1], s[0:1], 0x40
	v_bfe_u32 v0, v0, 10, 10
	s_waitcnt lgkmcnt(0)
	v_mad_u64_u32 v[2:3], null, s13, v1, 0
	v_mad_u64_u32 v[4:5], null, s14, v1, 0
	s_ashr_i32 s13, s13, 31
	s_lshl_b64 s[10:11], s[10:11], 3
	s_delay_alu instid0(VALU_DEP_1) | instskip(SKIP_4) | instid1(SALU_CYCLE_1)
	v_mad_u64_u32 v[6:7], null, s13, v1, v[3:4]
	s_ashr_i32 s13, s14, 31
	s_add_u32 s8, s10, s8
	s_addc_u32 s9, s11, s9
	s_lshl_b64 s[0:1], s[0:1], 3
	s_add_u32 s0, s0, s18
	s_delay_alu instid0(VALU_DEP_1) | instskip(SKIP_2) | instid1(VALU_DEP_1)
	v_mad_u64_u32 v[7:8], null, s13, v1, v[5:6]
	v_dual_mov_b32 v3, v6 :: v_dual_lshlrev_b32 v8, 2, v0
	s_addc_u32 s1, s1, s19
	v_lshl_add_u32 v6, s15, 5, v8
	s_delay_alu instid0(VALU_DEP_3) | instskip(NEXT) | instid1(VALU_DEP_3)
	v_mov_b32_e32 v5, v7
	v_lshlrev_b64 v[0:1], 3, v[2:3]
	s_delay_alu instid0(VALU_DEP_2) | instskip(NEXT) | instid1(VALU_DEP_2)
	v_lshlrev_b64 v[2:3], 3, v[4:5]
	v_add_co_u32 v4, vcc_lo, s8, v0
	s_delay_alu instid0(VALU_DEP_3) | instskip(NEXT) | instid1(VALU_DEP_3)
	v_add_co_ci_u32_e32 v5, vcc_lo, s9, v1, vcc_lo
	v_add_co_u32 v2, vcc_lo, s0, v2
	s_delay_alu instid0(VALU_DEP_4)
	v_add_co_ci_u32_e32 v3, vcc_lo, s1, v3, vcc_lo
	s_mov_b32 s0, exec_lo
	v_cmpx_gt_u32_e64 s12, v6
	s_cbranch_execz .LBB42_4
; %bb.2:
	v_mad_u64_u32 v[0:1], null, v6, s6, 0
	s_delay_alu instid0(VALU_DEP_1) | instskip(NEXT) | instid1(VALU_DEP_1)
	v_mad_u64_u32 v[7:8], null, v6, s7, v[1:2]
	v_mov_b32_e32 v1, v7
	s_delay_alu instid0(VALU_DEP_1) | instskip(NEXT) | instid1(VALU_DEP_1)
	v_lshlrev_b64 v[0:1], 3, v[0:1]
	v_add_co_u32 v0, vcc_lo, s4, v0
	s_delay_alu instid0(VALU_DEP_2) | instskip(SKIP_3) | instid1(VALU_DEP_1)
	v_add_co_ci_u32_e32 v1, vcc_lo, s5, v1, vcc_lo
	global_load_b64 v[0:1], v[0:1], off
	s_waitcnt vmcnt(0)
	v_or_b32_e32 v7, v0, v1
	v_and_b32_e32 v7, 0x7fffffff, v7
	s_delay_alu instid0(VALU_DEP_1)
	v_cmp_ne_u32_e32 vcc_lo, 0, v7
	s_and_b32 exec_lo, exec_lo, vcc_lo
	s_cbranch_execz .LBB42_4
; %bb.3:
	v_mad_u64_u32 v[7:8], null, v6, s16, 0
	v_mad_u64_u32 v[9:10], null, v6, s2, 0
	s_delay_alu instid0(VALU_DEP_1) | instskip(NEXT) | instid1(VALU_DEP_1)
	v_mad_u64_u32 v[11:12], null, v6, s17, v[8:9]
	v_mov_b32_e32 v8, v11
	s_delay_alu instid0(VALU_DEP_3) | instskip(NEXT) | instid1(VALU_DEP_2)
	v_mad_u64_u32 v[11:12], null, v6, s3, v[10:11]
	v_lshlrev_b64 v[7:8], 3, v[7:8]
	s_delay_alu instid0(VALU_DEP_1) | instskip(NEXT) | instid1(VALU_DEP_2)
	v_add_co_u32 v7, vcc_lo, v4, v7
	v_add_co_ci_u32_e32 v8, vcc_lo, v5, v8, vcc_lo
	global_load_b64 v[7:8], v[7:8], off
	s_waitcnt vmcnt(0)
	v_dual_mov_b32 v10, v11 :: v_dual_mul_f32 v13, v8, v1
	s_delay_alu instid0(VALU_DEP_1) | instskip(SKIP_1) | instid1(VALU_DEP_3)
	v_lshlrev_b64 v[9:10], 3, v[9:10]
	v_mul_f32_e32 v8, v8, v0
	v_fma_f32 v0, v7, v0, -v13
	s_delay_alu instid0(VALU_DEP_3) | instskip(NEXT) | instid1(VALU_DEP_4)
	v_add_co_u32 v9, vcc_lo, v2, v9
	v_add_co_ci_u32_e32 v10, vcc_lo, v3, v10, vcc_lo
	s_delay_alu instid0(VALU_DEP_4)
	v_fmac_f32_e32 v8, v7, v1
	global_load_b64 v[11:12], v[9:10], off
	s_waitcnt vmcnt(0)
	v_add_f32_e32 v0, v0, v11
	v_add_f32_e32 v1, v8, v12
	global_store_b64 v[9:10], v[0:1], off
.LBB42_4:
	s_or_b32 exec_lo, exec_lo, s0
	v_or_b32_e32 v7, 1, v6
	s_mov_b32 s0, exec_lo
	s_delay_alu instid0(VALU_DEP_1)
	v_cmpx_gt_u32_e64 s12, v7
	s_cbranch_execz .LBB42_7
; %bb.5:
	v_mad_u64_u32 v[0:1], null, v7, s6, 0
	s_delay_alu instid0(VALU_DEP_1) | instskip(NEXT) | instid1(VALU_DEP_1)
	v_mad_u64_u32 v[8:9], null, v7, s7, v[1:2]
	v_mov_b32_e32 v1, v8
	s_delay_alu instid0(VALU_DEP_1) | instskip(NEXT) | instid1(VALU_DEP_1)
	v_lshlrev_b64 v[0:1], 3, v[0:1]
	v_add_co_u32 v0, vcc_lo, s4, v0
	s_delay_alu instid0(VALU_DEP_2) | instskip(SKIP_3) | instid1(VALU_DEP_1)
	v_add_co_ci_u32_e32 v1, vcc_lo, s5, v1, vcc_lo
	global_load_b64 v[0:1], v[0:1], off
	s_waitcnt vmcnt(0)
	v_or_b32_e32 v8, v0, v1
	v_and_b32_e32 v8, 0x7fffffff, v8
	s_delay_alu instid0(VALU_DEP_1)
	v_cmp_ne_u32_e32 vcc_lo, 0, v8
	s_and_b32 exec_lo, exec_lo, vcc_lo
	s_cbranch_execz .LBB42_7
; %bb.6:
	v_mad_u64_u32 v[8:9], null, v7, s16, 0
	v_mad_u64_u32 v[10:11], null, v7, s2, 0
	s_delay_alu instid0(VALU_DEP_1) | instskip(NEXT) | instid1(VALU_DEP_1)
	v_mad_u64_u32 v[12:13], null, v7, s17, v[9:10]
	v_mov_b32_e32 v9, v12
	s_delay_alu instid0(VALU_DEP_3) | instskip(NEXT) | instid1(VALU_DEP_2)
	v_mad_u64_u32 v[12:13], null, v7, s3, v[11:12]
	v_lshlrev_b64 v[7:8], 3, v[8:9]
	s_delay_alu instid0(VALU_DEP_2) | instskip(NEXT) | instid1(VALU_DEP_2)
	v_mov_b32_e32 v11, v12
	v_add_co_u32 v7, vcc_lo, v4, v7
	s_delay_alu instid0(VALU_DEP_3) | instskip(NEXT) | instid1(VALU_DEP_3)
	v_add_co_ci_u32_e32 v8, vcc_lo, v5, v8, vcc_lo
	v_lshlrev_b64 v[9:10], 3, v[10:11]
	global_load_b64 v[7:8], v[7:8], off
	v_add_co_u32 v9, vcc_lo, v2, v9
	v_add_co_ci_u32_e32 v10, vcc_lo, v3, v10, vcc_lo
	global_load_b64 v[11:12], v[9:10], off
	s_waitcnt vmcnt(1)
	v_mul_f32_e32 v13, v8, v1
	v_mul_f32_e32 v8, v8, v0
	s_delay_alu instid0(VALU_DEP_2) | instskip(NEXT) | instid1(VALU_DEP_2)
	v_fma_f32 v0, v7, v0, -v13
	v_fmac_f32_e32 v8, v7, v1
	s_waitcnt vmcnt(0)
	s_delay_alu instid0(VALU_DEP_2) | instskip(NEXT) | instid1(VALU_DEP_2)
	v_add_f32_e32 v0, v0, v11
	v_add_f32_e32 v1, v8, v12
	global_store_b64 v[9:10], v[0:1], off
.LBB42_7:
	s_or_b32 exec_lo, exec_lo, s0
	v_or_b32_e32 v7, 2, v6
	s_mov_b32 s0, exec_lo
	s_delay_alu instid0(VALU_DEP_1)
	v_cmpx_gt_u32_e64 s12, v7
	s_cbranch_execz .LBB42_10
; %bb.8:
	v_mad_u64_u32 v[0:1], null, v7, s6, 0
	s_delay_alu instid0(VALU_DEP_1) | instskip(NEXT) | instid1(VALU_DEP_1)
	v_mad_u64_u32 v[8:9], null, v7, s7, v[1:2]
	v_mov_b32_e32 v1, v8
	s_delay_alu instid0(VALU_DEP_1) | instskip(NEXT) | instid1(VALU_DEP_1)
	v_lshlrev_b64 v[0:1], 3, v[0:1]
	v_add_co_u32 v0, vcc_lo, s4, v0
	s_delay_alu instid0(VALU_DEP_2) | instskip(SKIP_3) | instid1(VALU_DEP_1)
	v_add_co_ci_u32_e32 v1, vcc_lo, s5, v1, vcc_lo
	global_load_b64 v[0:1], v[0:1], off
	s_waitcnt vmcnt(0)
	v_or_b32_e32 v8, v0, v1
	v_and_b32_e32 v8, 0x7fffffff, v8
	s_delay_alu instid0(VALU_DEP_1)
	v_cmp_ne_u32_e32 vcc_lo, 0, v8
	s_and_b32 exec_lo, exec_lo, vcc_lo
	s_cbranch_execz .LBB42_10
; %bb.9:
	v_mad_u64_u32 v[8:9], null, v7, s16, 0
	v_mad_u64_u32 v[10:11], null, v7, s2, 0
	s_delay_alu instid0(VALU_DEP_1) | instskip(NEXT) | instid1(VALU_DEP_1)
	v_mad_u64_u32 v[12:13], null, v7, s17, v[9:10]
	v_mov_b32_e32 v9, v12
	s_delay_alu instid0(VALU_DEP_3) | instskip(NEXT) | instid1(VALU_DEP_2)
	v_mad_u64_u32 v[12:13], null, v7, s3, v[11:12]
	v_lshlrev_b64 v[7:8], 3, v[8:9]
	s_delay_alu instid0(VALU_DEP_2) | instskip(NEXT) | instid1(VALU_DEP_2)
	v_mov_b32_e32 v11, v12
	v_add_co_u32 v7, vcc_lo, v4, v7
	s_delay_alu instid0(VALU_DEP_3) | instskip(NEXT) | instid1(VALU_DEP_3)
	v_add_co_ci_u32_e32 v8, vcc_lo, v5, v8, vcc_lo
	v_lshlrev_b64 v[9:10], 3, v[10:11]
	global_load_b64 v[7:8], v[7:8], off
	v_add_co_u32 v9, vcc_lo, v2, v9
	v_add_co_ci_u32_e32 v10, vcc_lo, v3, v10, vcc_lo
	global_load_b64 v[11:12], v[9:10], off
	s_waitcnt vmcnt(1)
	v_mul_f32_e32 v13, v8, v1
	v_mul_f32_e32 v8, v8, v0
	s_delay_alu instid0(VALU_DEP_2) | instskip(NEXT) | instid1(VALU_DEP_2)
	v_fma_f32 v0, v7, v0, -v13
	v_fmac_f32_e32 v8, v7, v1
	s_waitcnt vmcnt(0)
	s_delay_alu instid0(VALU_DEP_2) | instskip(NEXT) | instid1(VALU_DEP_2)
	v_add_f32_e32 v0, v0, v11
	v_add_f32_e32 v1, v8, v12
	global_store_b64 v[9:10], v[0:1], off
.LBB42_10:
	s_or_b32 exec_lo, exec_lo, s0
	v_or_b32_e32 v6, 3, v6
	s_delay_alu instid0(VALU_DEP_1)
	v_cmp_gt_u32_e32 vcc_lo, s12, v6
	s_and_b32 exec_lo, exec_lo, vcc_lo
	s_cbranch_execz .LBB42_13
; %bb.11:
	v_mad_u64_u32 v[0:1], null, v6, s6, 0
	s_delay_alu instid0(VALU_DEP_1) | instskip(NEXT) | instid1(VALU_DEP_1)
	v_mad_u64_u32 v[7:8], null, v6, s7, v[1:2]
	v_mov_b32_e32 v1, v7
	s_delay_alu instid0(VALU_DEP_1) | instskip(NEXT) | instid1(VALU_DEP_1)
	v_lshlrev_b64 v[0:1], 3, v[0:1]
	v_add_co_u32 v0, vcc_lo, s4, v0
	s_delay_alu instid0(VALU_DEP_2) | instskip(SKIP_3) | instid1(VALU_DEP_1)
	v_add_co_ci_u32_e32 v1, vcc_lo, s5, v1, vcc_lo
	global_load_b64 v[0:1], v[0:1], off
	s_waitcnt vmcnt(0)
	v_or_b32_e32 v7, v0, v1
	v_and_b32_e32 v7, 0x7fffffff, v7
	s_delay_alu instid0(VALU_DEP_1)
	v_cmp_ne_u32_e32 vcc_lo, 0, v7
	s_and_b32 exec_lo, exec_lo, vcc_lo
	s_cbranch_execz .LBB42_13
; %bb.12:
	v_mad_u64_u32 v[7:8], null, v6, s16, 0
	v_mad_u64_u32 v[9:10], null, v6, s2, 0
	s_delay_alu instid0(VALU_DEP_1) | instskip(NEXT) | instid1(VALU_DEP_1)
	v_mad_u64_u32 v[11:12], null, v6, s17, v[8:9]
	v_mov_b32_e32 v8, v11
	s_delay_alu instid0(VALU_DEP_3) | instskip(NEXT) | instid1(VALU_DEP_2)
	v_mad_u64_u32 v[11:12], null, v6, s3, v[10:11]
	v_lshlrev_b64 v[6:7], 3, v[7:8]
	s_delay_alu instid0(VALU_DEP_1) | instskip(NEXT) | instid1(VALU_DEP_2)
	v_add_co_u32 v4, vcc_lo, v4, v6
	v_add_co_ci_u32_e32 v5, vcc_lo, v5, v7, vcc_lo
	global_load_b64 v[4:5], v[4:5], off
	s_waitcnt vmcnt(0)
	v_mul_f32_e32 v8, v5, v1
	v_dual_mul_f32 v5, v5, v0 :: v_dual_mov_b32 v10, v11
	s_delay_alu instid0(VALU_DEP_2) | instskip(NEXT) | instid1(VALU_DEP_2)
	v_fma_f32 v0, v4, v0, -v8
	v_fmac_f32_e32 v5, v4, v1
	s_delay_alu instid0(VALU_DEP_3) | instskip(NEXT) | instid1(VALU_DEP_1)
	v_lshlrev_b64 v[6:7], 3, v[9:10]
	v_add_co_u32 v2, vcc_lo, v2, v6
	s_delay_alu instid0(VALU_DEP_2)
	v_add_co_ci_u32_e32 v3, vcc_lo, v3, v7, vcc_lo
	global_load_b64 v[6:7], v[2:3], off
	s_waitcnt vmcnt(0)
	v_dual_add_f32 v0, v0, v6 :: v_dual_add_f32 v1, v5, v7
	global_store_b64 v[2:3], v[0:1], off
.LBB42_13:
	s_nop 0
	s_sendmsg sendmsg(MSG_DEALLOC_VGPRS)
	s_endpgm
	.section	.rodata,"a",@progbits
	.p2align	6, 0x0
	.amdhsa_kernel _ZL27rocblas_axpy_kernel_batchedIiLi128ELi8E19rocblas_complex_numIfEPKS1_S3_PS1_EviT3_lT4_lT_lT5_lS7_li
		.amdhsa_group_segment_fixed_size 0
		.amdhsa_private_segment_fixed_size 0
		.amdhsa_kernarg_size 92
		.amdhsa_user_sgpr_count 14
		.amdhsa_user_sgpr_dispatch_ptr 0
		.amdhsa_user_sgpr_queue_ptr 0
		.amdhsa_user_sgpr_kernarg_segment_ptr 1
		.amdhsa_user_sgpr_dispatch_id 0
		.amdhsa_user_sgpr_private_segment_size 0
		.amdhsa_wavefront_size32 1
		.amdhsa_uses_dynamic_stack 0
		.amdhsa_enable_private_segment 0
		.amdhsa_system_sgpr_workgroup_id_x 1
		.amdhsa_system_sgpr_workgroup_id_y 0
		.amdhsa_system_sgpr_workgroup_id_z 1
		.amdhsa_system_sgpr_workgroup_info 0
		.amdhsa_system_vgpr_workitem_id 1
		.amdhsa_next_free_vgpr 14
		.amdhsa_next_free_sgpr 20
		.amdhsa_reserve_vcc 1
		.amdhsa_float_round_mode_32 0
		.amdhsa_float_round_mode_16_64 0
		.amdhsa_float_denorm_mode_32 3
		.amdhsa_float_denorm_mode_16_64 3
		.amdhsa_dx10_clamp 1
		.amdhsa_ieee_mode 1
		.amdhsa_fp16_overflow 0
		.amdhsa_workgroup_processor_mode 1
		.amdhsa_memory_ordered 1
		.amdhsa_forward_progress 0
		.amdhsa_shared_vgpr_count 0
		.amdhsa_exception_fp_ieee_invalid_op 0
		.amdhsa_exception_fp_denorm_src 0
		.amdhsa_exception_fp_ieee_div_zero 0
		.amdhsa_exception_fp_ieee_overflow 0
		.amdhsa_exception_fp_ieee_underflow 0
		.amdhsa_exception_fp_ieee_inexact 0
		.amdhsa_exception_int_div_zero 0
	.end_amdhsa_kernel
	.section	.text._ZL27rocblas_axpy_kernel_batchedIiLi128ELi8E19rocblas_complex_numIfEPKS1_S3_PS1_EviT3_lT4_lT_lT5_lS7_li,"axG",@progbits,_ZL27rocblas_axpy_kernel_batchedIiLi128ELi8E19rocblas_complex_numIfEPKS1_S3_PS1_EviT3_lT4_lT_lT5_lS7_li,comdat
.Lfunc_end42:
	.size	_ZL27rocblas_axpy_kernel_batchedIiLi128ELi8E19rocblas_complex_numIfEPKS1_S3_PS1_EviT3_lT4_lT_lT5_lS7_li, .Lfunc_end42-_ZL27rocblas_axpy_kernel_batchedIiLi128ELi8E19rocblas_complex_numIfEPKS1_S3_PS1_EviT3_lT4_lT_lT5_lS7_li
                                        ; -- End function
	.section	.AMDGPU.csdata,"",@progbits
; Kernel info:
; codeLenInByte = 1408
; NumSgprs: 22
; NumVgprs: 14
; ScratchSize: 0
; MemoryBound: 0
; FloatMode: 240
; IeeeMode: 1
; LDSByteSize: 0 bytes/workgroup (compile time only)
; SGPRBlocks: 2
; VGPRBlocks: 1
; NumSGPRsForWavesPerEU: 22
; NumVGPRsForWavesPerEU: 14
; Occupancy: 16
; WaveLimiterHint : 0
; COMPUTE_PGM_RSRC2:SCRATCH_EN: 0
; COMPUTE_PGM_RSRC2:USER_SGPR: 14
; COMPUTE_PGM_RSRC2:TRAP_HANDLER: 0
; COMPUTE_PGM_RSRC2:TGID_X_EN: 1
; COMPUTE_PGM_RSRC2:TGID_Y_EN: 0
; COMPUTE_PGM_RSRC2:TGID_Z_EN: 1
; COMPUTE_PGM_RSRC2:TIDIG_COMP_CNT: 1
	.section	.text._ZL27rocblas_axpy_kernel_batchedIiLi128ELi8E19rocblas_complex_numIfES1_PKS1_PS1_EviT3_lT4_lT_lT5_lS7_li,"axG",@progbits,_ZL27rocblas_axpy_kernel_batchedIiLi128ELi8E19rocblas_complex_numIfES1_PKS1_PS1_EviT3_lT4_lT_lT5_lS7_li,comdat
	.globl	_ZL27rocblas_axpy_kernel_batchedIiLi128ELi8E19rocblas_complex_numIfES1_PKS1_PS1_EviT3_lT4_lT_lT5_lS7_li ; -- Begin function _ZL27rocblas_axpy_kernel_batchedIiLi128ELi8E19rocblas_complex_numIfES1_PKS1_PS1_EviT3_lT4_lT_lT5_lS7_li
	.p2align	8
	.type	_ZL27rocblas_axpy_kernel_batchedIiLi128ELi8E19rocblas_complex_numIfES1_PKS1_PS1_EviT3_lT4_lT_lT5_lS7_li,@function
_ZL27rocblas_axpy_kernel_batchedIiLi128ELi8E19rocblas_complex_numIfES1_PKS1_PS1_EviT3_lT4_lT_lT5_lS7_li: ; @_ZL27rocblas_axpy_kernel_batchedIiLi128ELi8E19rocblas_complex_numIfES1_PKS1_PS1_EviT3_lT4_lT_lT5_lS7_li
; %bb.0:
	s_load_b32 s2, s[0:1], 0x0
	v_dual_mov_b32 v2, 0 :: v_dual_and_b32 v1, 0x3ff, v0
	s_delay_alu instid0(VALU_DEP_1)
	v_lshl_add_u32 v1, s14, 7, v1
	s_waitcnt lgkmcnt(0)
	s_ashr_i32 s3, s2, 31
	s_delay_alu instid0(VALU_DEP_1) | instid1(SALU_CYCLE_1)
	v_cmp_gt_i64_e32 vcc_lo, s[2:3], v[1:2]
	s_and_saveexec_b32 s2, vcc_lo
	s_cbranch_execz .LBB43_9
; %bb.1:
	s_clause 0x7
	s_load_b32 s12, s[0:1], 0x28
	s_load_b32 s14, s[0:1], 0x48
	s_load_b128 s[16:19], s[0:1], 0x18
	s_load_b64 s[10:11], s[0:1], 0x40
	s_load_b64 s[2:3], s[0:1], 0x4
	s_load_b128 s[4:7], s[0:1], 0x30
	s_load_b64 s[8:9], s[0:1], 0x50
	s_load_b32 s1, s[0:1], 0x58
	v_bfe_u32 v0, v0, 10, 10
	s_waitcnt lgkmcnt(0)
	v_mad_u64_u32 v[2:3], null, s12, v1, 0
	v_mad_u64_u32 v[4:5], null, s14, v1, 0
	s_ashr_i32 s0, s12, 31
	s_ashr_i32 s14, s14, 31
	s_lshl_b64 s[12:13], s[18:19], 3
	s_delay_alu instid0(SALU_CYCLE_1) | instskip(SKIP_1) | instid1(VALU_DEP_1)
	s_add_u32 s12, s12, s16
	s_addc_u32 s13, s13, s17
	v_mad_u64_u32 v[6:7], null, s0, v1, v[3:4]
	v_lshlrev_b32_e32 v0, 2, v0
	s_lshl_b64 s[10:11], s[10:11], 3
	s_delay_alu instid0(SALU_CYCLE_1) | instskip(SKIP_2) | instid1(VALU_DEP_2)
	s_add_u32 s10, s10, s6
	s_addc_u32 s7, s11, s7
	s_or_b32 s0, s2, s3
	v_mov_b32_e32 v3, v6
	v_mad_u64_u32 v[7:8], null, s14, v1, v[5:6]
	s_bitset0_b32 s0, 31
	v_lshl_add_u32 v0, s15, 5, v0
	s_delay_alu instid0(VALU_DEP_3) | instskip(SKIP_2) | instid1(VALU_DEP_3)
	v_lshlrev_b64 v[1:2], 3, v[2:3]
	s_cmp_eq_u32 s0, 0
	s_cselect_b32 s6, -1, 0
	v_mov_b32_e32 v5, v7
	s_cmp_lg_u32 s0, 0
	s_delay_alu instid0(VALU_DEP_2) | instskip(SKIP_1) | instid1(VALU_DEP_3)
	v_add_co_u32 v3, s0, s12, v1
	v_cmp_gt_u32_e32 vcc_lo, s1, v0
	v_lshlrev_b64 v[5:6], 3, v[4:5]
	v_add_co_ci_u32_e64 v4, s0, s13, v2, s0
	s_delay_alu instid0(VALU_DEP_2) | instskip(NEXT) | instid1(VALU_DEP_1)
	v_add_co_u32 v1, s0, s10, v5
	v_add_co_ci_u32_e64 v2, s0, s7, v6, s0
	s_cselect_b32 s0, -1, 0
	s_delay_alu instid0(SALU_CYCLE_1) | instskip(NEXT) | instid1(SALU_CYCLE_1)
	s_and_b32 s7, vcc_lo, s0
	s_and_saveexec_b32 s0, s7
	s_cbranch_execz .LBB43_3
; %bb.2:
	v_mad_u64_u32 v[5:6], null, v0, s4, 0
	v_mad_u64_u32 v[7:8], null, v0, s8, 0
	s_delay_alu instid0(VALU_DEP_1) | instskip(NEXT) | instid1(VALU_DEP_1)
	v_mad_u64_u32 v[9:10], null, v0, s5, v[6:7]
	v_mov_b32_e32 v6, v9
	s_delay_alu instid0(VALU_DEP_3) | instskip(NEXT) | instid1(VALU_DEP_2)
	v_mad_u64_u32 v[9:10], null, v0, s9, v[8:9]
	v_lshlrev_b64 v[5:6], 3, v[5:6]
	s_delay_alu instid0(VALU_DEP_1) | instskip(NEXT) | instid1(VALU_DEP_2)
	v_add_co_u32 v5, vcc_lo, v3, v5
	v_add_co_ci_u32_e32 v6, vcc_lo, v4, v6, vcc_lo
	global_load_b64 v[5:6], v[5:6], off
	s_waitcnt vmcnt(0)
	v_dual_mov_b32 v8, v9 :: v_dual_mul_f32 v11, s3, v6
	s_delay_alu instid0(VALU_DEP_1) | instskip(SKIP_1) | instid1(VALU_DEP_3)
	v_lshlrev_b64 v[7:8], 3, v[7:8]
	v_mul_f32_e32 v6, s2, v6
	v_fma_f32 v11, v5, s2, -v11
	s_delay_alu instid0(VALU_DEP_3) | instskip(NEXT) | instid1(VALU_DEP_4)
	v_add_co_u32 v7, vcc_lo, v1, v7
	v_add_co_ci_u32_e32 v8, vcc_lo, v2, v8, vcc_lo
	s_delay_alu instid0(VALU_DEP_4)
	v_fmac_f32_e32 v6, s3, v5
	global_load_b64 v[9:10], v[7:8], off
	s_waitcnt vmcnt(0)
	v_dual_add_f32 v5, v11, v9 :: v_dual_add_f32 v6, v6, v10
	global_store_b64 v[7:8], v[5:6], off
.LBB43_3:
	s_or_b32 exec_lo, exec_lo, s0
	v_or_b32_e32 v5, 1, v0
	s_xor_b32 s0, s6, -1
	s_delay_alu instid0(VALU_DEP_1) | instskip(SKIP_1) | instid1(SALU_CYCLE_1)
	v_cmp_gt_u32_e32 vcc_lo, s1, v5
	s_and_b32 s7, vcc_lo, s0
	s_and_saveexec_b32 s6, s7
	s_cbranch_execz .LBB43_5
; %bb.4:
	v_mad_u64_u32 v[6:7], null, v5, s4, 0
	v_mad_u64_u32 v[8:9], null, v5, s8, 0
	s_delay_alu instid0(VALU_DEP_1) | instskip(NEXT) | instid1(VALU_DEP_1)
	v_mad_u64_u32 v[10:11], null, v5, s5, v[7:8]
	v_mov_b32_e32 v7, v10
	s_delay_alu instid0(VALU_DEP_3) | instskip(NEXT) | instid1(VALU_DEP_2)
	v_mad_u64_u32 v[10:11], null, v5, s9, v[9:10]
	v_lshlrev_b64 v[5:6], 3, v[6:7]
	s_delay_alu instid0(VALU_DEP_1) | instskip(NEXT) | instid1(VALU_DEP_2)
	v_add_co_u32 v5, vcc_lo, v3, v5
	v_add_co_ci_u32_e32 v6, vcc_lo, v4, v6, vcc_lo
	global_load_b64 v[5:6], v[5:6], off
	s_waitcnt vmcnt(0)
	v_mul_f32_e32 v11, s3, v6
	v_dual_mul_f32 v6, s2, v6 :: v_dual_mov_b32 v9, v10
	s_delay_alu instid0(VALU_DEP_2) | instskip(NEXT) | instid1(VALU_DEP_2)
	v_fma_f32 v11, v5, s2, -v11
	v_fmac_f32_e32 v6, s3, v5
	s_delay_alu instid0(VALU_DEP_3) | instskip(NEXT) | instid1(VALU_DEP_1)
	v_lshlrev_b64 v[7:8], 3, v[8:9]
	v_add_co_u32 v7, vcc_lo, v1, v7
	s_delay_alu instid0(VALU_DEP_2)
	v_add_co_ci_u32_e32 v8, vcc_lo, v2, v8, vcc_lo
	global_load_b64 v[9:10], v[7:8], off
	s_waitcnt vmcnt(0)
	v_dual_add_f32 v5, v11, v9 :: v_dual_add_f32 v6, v6, v10
	global_store_b64 v[7:8], v[5:6], off
.LBB43_5:
	s_or_b32 exec_lo, exec_lo, s6
	v_or_b32_e32 v5, 2, v0
	s_delay_alu instid0(VALU_DEP_1) | instskip(SKIP_1) | instid1(SALU_CYCLE_1)
	v_cmp_gt_u32_e32 vcc_lo, s1, v5
	s_and_b32 s7, vcc_lo, s0
	s_and_saveexec_b32 s6, s7
	s_cbranch_execz .LBB43_7
; %bb.6:
	v_mad_u64_u32 v[6:7], null, v5, s4, 0
	v_mad_u64_u32 v[8:9], null, v5, s8, 0
	s_delay_alu instid0(VALU_DEP_1) | instskip(NEXT) | instid1(VALU_DEP_1)
	v_mad_u64_u32 v[10:11], null, v5, s5, v[7:8]
	v_mov_b32_e32 v7, v10
	s_delay_alu instid0(VALU_DEP_3) | instskip(NEXT) | instid1(VALU_DEP_2)
	v_mad_u64_u32 v[10:11], null, v5, s9, v[9:10]
	v_lshlrev_b64 v[5:6], 3, v[6:7]
	s_delay_alu instid0(VALU_DEP_1) | instskip(NEXT) | instid1(VALU_DEP_2)
	v_add_co_u32 v5, vcc_lo, v3, v5
	v_add_co_ci_u32_e32 v6, vcc_lo, v4, v6, vcc_lo
	global_load_b64 v[5:6], v[5:6], off
	s_waitcnt vmcnt(0)
	v_mul_f32_e32 v11, s3, v6
	v_dual_mul_f32 v6, s2, v6 :: v_dual_mov_b32 v9, v10
	s_delay_alu instid0(VALU_DEP_2) | instskip(NEXT) | instid1(VALU_DEP_2)
	v_fma_f32 v11, v5, s2, -v11
	v_fmac_f32_e32 v6, s3, v5
	s_delay_alu instid0(VALU_DEP_3) | instskip(NEXT) | instid1(VALU_DEP_1)
	v_lshlrev_b64 v[7:8], 3, v[8:9]
	v_add_co_u32 v7, vcc_lo, v1, v7
	s_delay_alu instid0(VALU_DEP_2)
	v_add_co_ci_u32_e32 v8, vcc_lo, v2, v8, vcc_lo
	global_load_b64 v[9:10], v[7:8], off
	s_waitcnt vmcnt(0)
	v_dual_add_f32 v5, v11, v9 :: v_dual_add_f32 v6, v6, v10
	global_store_b64 v[7:8], v[5:6], off
.LBB43_7:
	s_or_b32 exec_lo, exec_lo, s6
	v_or_b32_e32 v0, 3, v0
	s_delay_alu instid0(VALU_DEP_1) | instskip(SKIP_1) | instid1(SALU_CYCLE_1)
	v_cmp_gt_u32_e32 vcc_lo, s1, v0
	s_and_b32 s0, vcc_lo, s0
	s_and_b32 exec_lo, exec_lo, s0
	s_cbranch_execz .LBB43_9
; %bb.8:
	v_mad_u64_u32 v[5:6], null, v0, s4, 0
	v_mad_u64_u32 v[7:8], null, v0, s8, 0
	s_delay_alu instid0(VALU_DEP_1) | instskip(NEXT) | instid1(VALU_DEP_1)
	v_mad_u64_u32 v[9:10], null, v0, s5, v[6:7]
	v_mov_b32_e32 v6, v9
	s_delay_alu instid0(VALU_DEP_3) | instskip(NEXT) | instid1(VALU_DEP_2)
	v_mad_u64_u32 v[9:10], null, v0, s9, v[8:9]
	v_lshlrev_b64 v[5:6], 3, v[5:6]
	s_delay_alu instid0(VALU_DEP_2) | instskip(NEXT) | instid1(VALU_DEP_2)
	v_mov_b32_e32 v8, v9
	v_add_co_u32 v3, vcc_lo, v3, v5
	s_delay_alu instid0(VALU_DEP_3) | instskip(NEXT) | instid1(VALU_DEP_3)
	v_add_co_ci_u32_e32 v4, vcc_lo, v4, v6, vcc_lo
	v_lshlrev_b64 v[5:6], 3, v[7:8]
	global_load_b64 v[3:4], v[3:4], off
	v_add_co_u32 v0, vcc_lo, v1, v5
	v_add_co_ci_u32_e32 v1, vcc_lo, v2, v6, vcc_lo
	global_load_b64 v[5:6], v[0:1], off
	s_waitcnt vmcnt(1)
	v_mul_f32_e32 v2, s3, v4
	v_mul_f32_e32 v4, s2, v4
	s_delay_alu instid0(VALU_DEP_2) | instskip(NEXT) | instid1(VALU_DEP_2)
	v_fma_f32 v2, v3, s2, -v2
	v_fmac_f32_e32 v4, s3, v3
	s_waitcnt vmcnt(0)
	s_delay_alu instid0(VALU_DEP_1)
	v_dual_add_f32 v2, v2, v5 :: v_dual_add_f32 v3, v4, v6
	global_store_b64 v[0:1], v[2:3], off
.LBB43_9:
	s_nop 0
	s_sendmsg sendmsg(MSG_DEALLOC_VGPRS)
	s_endpgm
	.section	.rodata,"a",@progbits
	.p2align	6, 0x0
	.amdhsa_kernel _ZL27rocblas_axpy_kernel_batchedIiLi128ELi8E19rocblas_complex_numIfES1_PKS1_PS1_EviT3_lT4_lT_lT5_lS7_li
		.amdhsa_group_segment_fixed_size 0
		.amdhsa_private_segment_fixed_size 0
		.amdhsa_kernarg_size 92
		.amdhsa_user_sgpr_count 14
		.amdhsa_user_sgpr_dispatch_ptr 0
		.amdhsa_user_sgpr_queue_ptr 0
		.amdhsa_user_sgpr_kernarg_segment_ptr 1
		.amdhsa_user_sgpr_dispatch_id 0
		.amdhsa_user_sgpr_private_segment_size 0
		.amdhsa_wavefront_size32 1
		.amdhsa_uses_dynamic_stack 0
		.amdhsa_enable_private_segment 0
		.amdhsa_system_sgpr_workgroup_id_x 1
		.amdhsa_system_sgpr_workgroup_id_y 0
		.amdhsa_system_sgpr_workgroup_id_z 1
		.amdhsa_system_sgpr_workgroup_info 0
		.amdhsa_system_vgpr_workitem_id 1
		.amdhsa_next_free_vgpr 12
		.amdhsa_next_free_sgpr 20
		.amdhsa_reserve_vcc 1
		.amdhsa_float_round_mode_32 0
		.amdhsa_float_round_mode_16_64 0
		.amdhsa_float_denorm_mode_32 3
		.amdhsa_float_denorm_mode_16_64 3
		.amdhsa_dx10_clamp 1
		.amdhsa_ieee_mode 1
		.amdhsa_fp16_overflow 0
		.amdhsa_workgroup_processor_mode 1
		.amdhsa_memory_ordered 1
		.amdhsa_forward_progress 0
		.amdhsa_shared_vgpr_count 0
		.amdhsa_exception_fp_ieee_invalid_op 0
		.amdhsa_exception_fp_denorm_src 0
		.amdhsa_exception_fp_ieee_div_zero 0
		.amdhsa_exception_fp_ieee_overflow 0
		.amdhsa_exception_fp_ieee_underflow 0
		.amdhsa_exception_fp_ieee_inexact 0
		.amdhsa_exception_int_div_zero 0
	.end_amdhsa_kernel
	.section	.text._ZL27rocblas_axpy_kernel_batchedIiLi128ELi8E19rocblas_complex_numIfES1_PKS1_PS1_EviT3_lT4_lT_lT5_lS7_li,"axG",@progbits,_ZL27rocblas_axpy_kernel_batchedIiLi128ELi8E19rocblas_complex_numIfES1_PKS1_PS1_EviT3_lT4_lT_lT5_lS7_li,comdat
.Lfunc_end43:
	.size	_ZL27rocblas_axpy_kernel_batchedIiLi128ELi8E19rocblas_complex_numIfES1_PKS1_PS1_EviT3_lT4_lT_lT5_lS7_li, .Lfunc_end43-_ZL27rocblas_axpy_kernel_batchedIiLi128ELi8E19rocblas_complex_numIfES1_PKS1_PS1_EviT3_lT4_lT_lT5_lS7_li
                                        ; -- End function
	.section	.AMDGPU.csdata,"",@progbits
; Kernel info:
; codeLenInByte = 1088
; NumSgprs: 22
; NumVgprs: 12
; ScratchSize: 0
; MemoryBound: 0
; FloatMode: 240
; IeeeMode: 1
; LDSByteSize: 0 bytes/workgroup (compile time only)
; SGPRBlocks: 2
; VGPRBlocks: 1
; NumSGPRsForWavesPerEU: 22
; NumVGPRsForWavesPerEU: 12
; Occupancy: 16
; WaveLimiterHint : 1
; COMPUTE_PGM_RSRC2:SCRATCH_EN: 0
; COMPUTE_PGM_RSRC2:USER_SGPR: 14
; COMPUTE_PGM_RSRC2:TRAP_HANDLER: 0
; COMPUTE_PGM_RSRC2:TGID_X_EN: 1
; COMPUTE_PGM_RSRC2:TGID_Y_EN: 0
; COMPUTE_PGM_RSRC2:TGID_Z_EN: 1
; COMPUTE_PGM_RSRC2:TIDIG_COMP_CNT: 1
	.section	.text._ZL19rocblas_axpy_kernelIiLi256E19rocblas_complex_numIfEPKS1_S3_PS1_EviT2_lT3_lT_lT4_lS7_li,"axG",@progbits,_ZL19rocblas_axpy_kernelIiLi256E19rocblas_complex_numIfEPKS1_S3_PS1_EviT2_lT3_lT_lT4_lS7_li,comdat
	.globl	_ZL19rocblas_axpy_kernelIiLi256E19rocblas_complex_numIfEPKS1_S3_PS1_EviT2_lT3_lT_lT4_lS7_li ; -- Begin function _ZL19rocblas_axpy_kernelIiLi256E19rocblas_complex_numIfEPKS1_S3_PS1_EviT2_lT3_lT_lT4_lS7_li
	.p2align	8
	.type	_ZL19rocblas_axpy_kernelIiLi256E19rocblas_complex_numIfEPKS1_S3_PS1_EviT2_lT3_lT_lT4_lS7_li,@function
_ZL19rocblas_axpy_kernelIiLi256E19rocblas_complex_numIfEPKS1_S3_PS1_EviT2_lT3_lT_lT4_lS7_li: ; @_ZL19rocblas_axpy_kernelIiLi256E19rocblas_complex_numIfEPKS1_S3_PS1_EviT2_lT3_lT_lT4_lS7_li
; %bb.0:
	s_clause 0x1
	s_load_b128 s[4:7], s[0:1], 0x8
	s_load_b32 s8, s[0:1], 0x0
	v_mov_b32_e32 v1, 0
	v_lshl_or_b32 v0, s14, 8, v0
	s_waitcnt lgkmcnt(0)
	s_mul_i32 s3, s15, s7
	s_mul_hi_u32 s7, s15, s6
	s_mul_i32 s2, s15, s6
	s_add_i32 s3, s7, s3
	s_ashr_i32 s9, s8, 31
	s_lshl_b64 s[2:3], s[2:3], 3
	v_cmp_gt_i64_e32 vcc_lo, s[8:9], v[0:1]
	s_add_u32 s2, s4, s2
	s_addc_u32 s3, s5, s3
	s_load_b64 s[2:3], s[2:3], 0x0
	s_waitcnt lgkmcnt(0)
	s_or_b32 s4, s2, s3
	s_delay_alu instid0(SALU_CYCLE_1) | instskip(NEXT) | instid1(SALU_CYCLE_1)
	s_bitset0_b32 s4, 31
	s_cmp_lg_u32 s4, 0
	s_cselect_b32 s4, -1, 0
	s_delay_alu instid0(SALU_CYCLE_1) | instskip(NEXT) | instid1(SALU_CYCLE_1)
	s_and_b32 s4, vcc_lo, s4
	s_and_saveexec_b32 s5, s4
	s_cbranch_execz .LBB44_2
; %bb.1:
	s_clause 0x5
	s_load_b32 s14, s[0:1], 0x28
	s_load_b32 s16, s[0:1], 0x48
	s_load_b128 s[4:7], s[0:1], 0x30
	s_load_b64 s[12:13], s[0:1], 0x50
	s_load_b128 s[8:11], s[0:1], 0x18
	s_load_b64 s[0:1], s[0:1], 0x40
	s_waitcnt lgkmcnt(0)
	v_mad_u64_u32 v[1:2], null, s14, v0, 0
	v_mad_u64_u32 v[3:4], null, s16, v0, 0
	s_ashr_i32 s17, s14, 31
	s_mul_i32 s5, s15, s5
	s_mul_hi_u32 s18, s15, s4
	s_mul_i32 s4, s15, s4
	s_add_i32 s5, s18, s5
	s_ashr_i32 s14, s16, 31
	s_delay_alu instid0(VALU_DEP_1)
	v_mad_u64_u32 v[5:6], null, s17, v0, v[2:3]
	s_lshl_b64 s[4:5], s[4:5], 3
	s_mul_i32 s13, s15, s13
	s_add_u32 s8, s8, s4
	s_addc_u32 s9, s9, s5
	s_lshl_b64 s[4:5], s[10:11], 3
	s_mul_hi_u32 s16, s15, s12
	s_delay_alu instid0(VALU_DEP_1) | instskip(SKIP_3) | instid1(VALU_DEP_2)
	v_mov_b32_e32 v2, v5
	v_mad_u64_u32 v[5:6], null, s14, v0, v[4:5]
	s_add_u32 s8, s4, s8
	s_addc_u32 s9, s5, s9
	v_lshlrev_b64 v[0:1], 3, v[1:2]
	s_mul_i32 s12, s15, s12
	s_add_i32 s13, s16, s13
	s_delay_alu instid0(SALU_CYCLE_1) | instskip(NEXT) | instid1(VALU_DEP_1)
	s_lshl_b64 s[4:5], s[12:13], 3
	v_add_co_u32 v0, vcc_lo, s8, v0
	s_delay_alu instid0(VALU_DEP_2)
	v_add_co_ci_u32_e32 v1, vcc_lo, s9, v1, vcc_lo
	s_add_u32 s4, s6, s4
	s_addc_u32 s5, s7, s5
	s_lshl_b64 s[0:1], s[0:1], 3
	global_load_b64 v[0:1], v[0:1], off
	s_add_u32 s0, s0, s4
	s_addc_u32 s1, s1, s5
	s_waitcnt vmcnt(0)
	v_mul_f32_e32 v6, s3, v1
	v_dual_mul_f32 v1, s2, v1 :: v_dual_mov_b32 v4, v5
	s_delay_alu instid0(VALU_DEP_2) | instskip(NEXT) | instid1(VALU_DEP_2)
	v_fma_f32 v6, v0, s2, -v6
	v_fmac_f32_e32 v1, s3, v0
	s_delay_alu instid0(VALU_DEP_3) | instskip(NEXT) | instid1(VALU_DEP_1)
	v_lshlrev_b64 v[2:3], 3, v[3:4]
	v_add_co_u32 v2, vcc_lo, s0, v2
	s_delay_alu instid0(VALU_DEP_2)
	v_add_co_ci_u32_e32 v3, vcc_lo, s1, v3, vcc_lo
	global_load_b64 v[4:5], v[2:3], off
	s_waitcnt vmcnt(0)
	v_dual_add_f32 v0, v6, v4 :: v_dual_add_f32 v1, v1, v5
	global_store_b64 v[2:3], v[0:1], off
.LBB44_2:
	s_nop 0
	s_sendmsg sendmsg(MSG_DEALLOC_VGPRS)
	s_endpgm
	.section	.rodata,"a",@progbits
	.p2align	6, 0x0
	.amdhsa_kernel _ZL19rocblas_axpy_kernelIiLi256E19rocblas_complex_numIfEPKS1_S3_PS1_EviT2_lT3_lT_lT4_lS7_li
		.amdhsa_group_segment_fixed_size 0
		.amdhsa_private_segment_fixed_size 0
		.amdhsa_kernarg_size 92
		.amdhsa_user_sgpr_count 14
		.amdhsa_user_sgpr_dispatch_ptr 0
		.amdhsa_user_sgpr_queue_ptr 0
		.amdhsa_user_sgpr_kernarg_segment_ptr 1
		.amdhsa_user_sgpr_dispatch_id 0
		.amdhsa_user_sgpr_private_segment_size 0
		.amdhsa_wavefront_size32 1
		.amdhsa_uses_dynamic_stack 0
		.amdhsa_enable_private_segment 0
		.amdhsa_system_sgpr_workgroup_id_x 1
		.amdhsa_system_sgpr_workgroup_id_y 0
		.amdhsa_system_sgpr_workgroup_id_z 1
		.amdhsa_system_sgpr_workgroup_info 0
		.amdhsa_system_vgpr_workitem_id 0
		.amdhsa_next_free_vgpr 7
		.amdhsa_next_free_sgpr 19
		.amdhsa_reserve_vcc 1
		.amdhsa_float_round_mode_32 0
		.amdhsa_float_round_mode_16_64 0
		.amdhsa_float_denorm_mode_32 3
		.amdhsa_float_denorm_mode_16_64 3
		.amdhsa_dx10_clamp 1
		.amdhsa_ieee_mode 1
		.amdhsa_fp16_overflow 0
		.amdhsa_workgroup_processor_mode 1
		.amdhsa_memory_ordered 1
		.amdhsa_forward_progress 0
		.amdhsa_shared_vgpr_count 0
		.amdhsa_exception_fp_ieee_invalid_op 0
		.amdhsa_exception_fp_denorm_src 0
		.amdhsa_exception_fp_ieee_div_zero 0
		.amdhsa_exception_fp_ieee_overflow 0
		.amdhsa_exception_fp_ieee_underflow 0
		.amdhsa_exception_fp_ieee_inexact 0
		.amdhsa_exception_int_div_zero 0
	.end_amdhsa_kernel
	.section	.text._ZL19rocblas_axpy_kernelIiLi256E19rocblas_complex_numIfEPKS1_S3_PS1_EviT2_lT3_lT_lT4_lS7_li,"axG",@progbits,_ZL19rocblas_axpy_kernelIiLi256E19rocblas_complex_numIfEPKS1_S3_PS1_EviT2_lT3_lT_lT4_lS7_li,comdat
.Lfunc_end44:
	.size	_ZL19rocblas_axpy_kernelIiLi256E19rocblas_complex_numIfEPKS1_S3_PS1_EviT2_lT3_lT_lT4_lS7_li, .Lfunc_end44-_ZL19rocblas_axpy_kernelIiLi256E19rocblas_complex_numIfEPKS1_S3_PS1_EviT2_lT3_lT_lT4_lS7_li
                                        ; -- End function
	.section	.AMDGPU.csdata,"",@progbits
; Kernel info:
; codeLenInByte = 444
; NumSgprs: 21
; NumVgprs: 7
; ScratchSize: 0
; MemoryBound: 0
; FloatMode: 240
; IeeeMode: 1
; LDSByteSize: 0 bytes/workgroup (compile time only)
; SGPRBlocks: 2
; VGPRBlocks: 0
; NumSGPRsForWavesPerEU: 21
; NumVGPRsForWavesPerEU: 7
; Occupancy: 16
; WaveLimiterHint : 0
; COMPUTE_PGM_RSRC2:SCRATCH_EN: 0
; COMPUTE_PGM_RSRC2:USER_SGPR: 14
; COMPUTE_PGM_RSRC2:TRAP_HANDLER: 0
; COMPUTE_PGM_RSRC2:TGID_X_EN: 1
; COMPUTE_PGM_RSRC2:TGID_Y_EN: 0
; COMPUTE_PGM_RSRC2:TGID_Z_EN: 1
; COMPUTE_PGM_RSRC2:TIDIG_COMP_CNT: 0
	.section	.text._ZL19rocblas_axpy_kernelIiLi256E19rocblas_complex_numIfES1_PKS1_PS1_EviT2_lT3_lT_lT4_lS7_li,"axG",@progbits,_ZL19rocblas_axpy_kernelIiLi256E19rocblas_complex_numIfES1_PKS1_PS1_EviT2_lT3_lT_lT4_lS7_li,comdat
	.globl	_ZL19rocblas_axpy_kernelIiLi256E19rocblas_complex_numIfES1_PKS1_PS1_EviT2_lT3_lT_lT4_lS7_li ; -- Begin function _ZL19rocblas_axpy_kernelIiLi256E19rocblas_complex_numIfES1_PKS1_PS1_EviT2_lT3_lT_lT4_lS7_li
	.p2align	8
	.type	_ZL19rocblas_axpy_kernelIiLi256E19rocblas_complex_numIfES1_PKS1_PS1_EviT2_lT3_lT_lT4_lS7_li,@function
_ZL19rocblas_axpy_kernelIiLi256E19rocblas_complex_numIfES1_PKS1_PS1_EviT2_lT3_lT_lT4_lS7_li: ; @_ZL19rocblas_axpy_kernelIiLi256E19rocblas_complex_numIfES1_PKS1_PS1_EviT2_lT3_lT_lT4_lS7_li
; %bb.0:
	s_load_b128 s[4:7], s[0:1], 0x0
	v_mov_b32_e32 v1, 0
	v_lshl_or_b32 v0, s14, 8, v0
	s_waitcnt lgkmcnt(0)
	s_or_b32 s2, s5, s6
	s_delay_alu instid0(SALU_CYCLE_1) | instskip(NEXT) | instid1(SALU_CYCLE_1)
	s_bitset0_b32 s2, 31
	s_cmp_lg_u32 s2, 0
	s_mov_b32 s2, s4
	s_cselect_b32 s7, -1, 0
	s_ashr_i32 s3, s4, 31
	s_delay_alu instid0(SALU_CYCLE_1) | instskip(SKIP_1) | instid1(SALU_CYCLE_1)
	v_cmp_gt_i64_e32 vcc_lo, s[2:3], v[0:1]
	s_and_b32 s2, vcc_lo, s7
	s_and_saveexec_b32 s3, s2
	s_cbranch_execz .LBB45_2
; %bb.1:
	s_clause 0x5
	s_load_b32 s4, s[0:1], 0x28
	s_load_b32 s7, s[0:1], 0x48
	s_load_b128 s[8:11], s[0:1], 0x30
	s_load_b64 s[2:3], s[0:1], 0x50
	s_load_b128 s[16:19], s[0:1], 0x18
	s_load_b64 s[0:1], s[0:1], 0x40
	s_waitcnt lgkmcnt(0)
	v_mad_u64_u32 v[1:2], null, s4, v0, 0
	v_mad_u64_u32 v[3:4], null, s7, v0, 0
	s_ashr_i32 s12, s4, 31
	s_mul_i32 s9, s15, s9
	s_mul_hi_u32 s13, s15, s8
	s_mul_i32 s8, s15, s8
	s_add_i32 s9, s13, s9
	s_ashr_i32 s4, s7, 31
	s_delay_alu instid0(VALU_DEP_1)
	v_mad_u64_u32 v[5:6], null, s12, v0, v[2:3]
	s_lshl_b64 s[8:9], s[8:9], 3
	s_mul_i32 s3, s15, s3
	s_add_u32 s12, s16, s8
	s_addc_u32 s13, s17, s9
	s_lshl_b64 s[8:9], s[18:19], 3
	s_mul_hi_u32 s7, s15, s2
	s_delay_alu instid0(VALU_DEP_1) | instskip(SKIP_3) | instid1(VALU_DEP_2)
	v_mov_b32_e32 v2, v5
	v_mad_u64_u32 v[5:6], null, s4, v0, v[4:5]
	s_add_u32 s8, s8, s12
	s_addc_u32 s9, s9, s13
	v_lshlrev_b64 v[0:1], 3, v[1:2]
	s_mul_i32 s2, s15, s2
	s_add_i32 s3, s7, s3
	s_delay_alu instid0(SALU_CYCLE_1) | instskip(NEXT) | instid1(VALU_DEP_1)
	s_lshl_b64 s[2:3], s[2:3], 3
	v_add_co_u32 v0, vcc_lo, s8, v0
	s_delay_alu instid0(VALU_DEP_2)
	v_add_co_ci_u32_e32 v1, vcc_lo, s9, v1, vcc_lo
	s_add_u32 s2, s10, s2
	s_addc_u32 s3, s11, s3
	s_lshl_b64 s[0:1], s[0:1], 3
	global_load_b64 v[0:1], v[0:1], off
	s_add_u32 s0, s0, s2
	s_addc_u32 s1, s1, s3
	s_waitcnt vmcnt(0)
	v_mul_f32_e32 v6, s6, v1
	v_dual_mul_f32 v1, s5, v1 :: v_dual_mov_b32 v4, v5
	s_delay_alu instid0(VALU_DEP_2) | instskip(NEXT) | instid1(VALU_DEP_2)
	v_fma_f32 v6, v0, s5, -v6
	v_fmac_f32_e32 v1, s6, v0
	s_delay_alu instid0(VALU_DEP_3) | instskip(NEXT) | instid1(VALU_DEP_1)
	v_lshlrev_b64 v[2:3], 3, v[3:4]
	v_add_co_u32 v2, vcc_lo, s0, v2
	s_delay_alu instid0(VALU_DEP_2)
	v_add_co_ci_u32_e32 v3, vcc_lo, s1, v3, vcc_lo
	global_load_b64 v[4:5], v[2:3], off
	s_waitcnt vmcnt(0)
	v_dual_add_f32 v0, v6, v4 :: v_dual_add_f32 v1, v1, v5
	global_store_b64 v[2:3], v[0:1], off
.LBB45_2:
	s_nop 0
	s_sendmsg sendmsg(MSG_DEALLOC_VGPRS)
	s_endpgm
	.section	.rodata,"a",@progbits
	.p2align	6, 0x0
	.amdhsa_kernel _ZL19rocblas_axpy_kernelIiLi256E19rocblas_complex_numIfES1_PKS1_PS1_EviT2_lT3_lT_lT4_lS7_li
		.amdhsa_group_segment_fixed_size 0
		.amdhsa_private_segment_fixed_size 0
		.amdhsa_kernarg_size 92
		.amdhsa_user_sgpr_count 14
		.amdhsa_user_sgpr_dispatch_ptr 0
		.amdhsa_user_sgpr_queue_ptr 0
		.amdhsa_user_sgpr_kernarg_segment_ptr 1
		.amdhsa_user_sgpr_dispatch_id 0
		.amdhsa_user_sgpr_private_segment_size 0
		.amdhsa_wavefront_size32 1
		.amdhsa_uses_dynamic_stack 0
		.amdhsa_enable_private_segment 0
		.amdhsa_system_sgpr_workgroup_id_x 1
		.amdhsa_system_sgpr_workgroup_id_y 0
		.amdhsa_system_sgpr_workgroup_id_z 1
		.amdhsa_system_sgpr_workgroup_info 0
		.amdhsa_system_vgpr_workitem_id 0
		.amdhsa_next_free_vgpr 7
		.amdhsa_next_free_sgpr 20
		.amdhsa_reserve_vcc 1
		.amdhsa_float_round_mode_32 0
		.amdhsa_float_round_mode_16_64 0
		.amdhsa_float_denorm_mode_32 3
		.amdhsa_float_denorm_mode_16_64 3
		.amdhsa_dx10_clamp 1
		.amdhsa_ieee_mode 1
		.amdhsa_fp16_overflow 0
		.amdhsa_workgroup_processor_mode 1
		.amdhsa_memory_ordered 1
		.amdhsa_forward_progress 0
		.amdhsa_shared_vgpr_count 0
		.amdhsa_exception_fp_ieee_invalid_op 0
		.amdhsa_exception_fp_denorm_src 0
		.amdhsa_exception_fp_ieee_div_zero 0
		.amdhsa_exception_fp_ieee_overflow 0
		.amdhsa_exception_fp_ieee_underflow 0
		.amdhsa_exception_fp_ieee_inexact 0
		.amdhsa_exception_int_div_zero 0
	.end_amdhsa_kernel
	.section	.text._ZL19rocblas_axpy_kernelIiLi256E19rocblas_complex_numIfES1_PKS1_PS1_EviT2_lT3_lT_lT4_lS7_li,"axG",@progbits,_ZL19rocblas_axpy_kernelIiLi256E19rocblas_complex_numIfES1_PKS1_PS1_EviT2_lT3_lT_lT4_lS7_li,comdat
.Lfunc_end45:
	.size	_ZL19rocblas_axpy_kernelIiLi256E19rocblas_complex_numIfES1_PKS1_PS1_EviT2_lT3_lT_lT4_lS7_li, .Lfunc_end45-_ZL19rocblas_axpy_kernelIiLi256E19rocblas_complex_numIfES1_PKS1_PS1_EviT2_lT3_lT_lT4_lS7_li
                                        ; -- End function
	.section	.AMDGPU.csdata,"",@progbits
; Kernel info:
; codeLenInByte = 396
; NumSgprs: 22
; NumVgprs: 7
; ScratchSize: 0
; MemoryBound: 0
; FloatMode: 240
; IeeeMode: 1
; LDSByteSize: 0 bytes/workgroup (compile time only)
; SGPRBlocks: 2
; VGPRBlocks: 0
; NumSGPRsForWavesPerEU: 22
; NumVGPRsForWavesPerEU: 7
; Occupancy: 16
; WaveLimiterHint : 0
; COMPUTE_PGM_RSRC2:SCRATCH_EN: 0
; COMPUTE_PGM_RSRC2:USER_SGPR: 14
; COMPUTE_PGM_RSRC2:TRAP_HANDLER: 0
; COMPUTE_PGM_RSRC2:TGID_X_EN: 1
; COMPUTE_PGM_RSRC2:TGID_Y_EN: 0
; COMPUTE_PGM_RSRC2:TGID_Z_EN: 1
; COMPUTE_PGM_RSRC2:TIDIG_COMP_CNT: 0
	.section	.text._ZL19rocblas_axpy_kernelIlLi256E19rocblas_complex_numIfEPKS1_S3_PS1_EviT2_lT3_lT_lT4_lS7_li,"axG",@progbits,_ZL19rocblas_axpy_kernelIlLi256E19rocblas_complex_numIfEPKS1_S3_PS1_EviT2_lT3_lT_lT4_lS7_li,comdat
	.globl	_ZL19rocblas_axpy_kernelIlLi256E19rocblas_complex_numIfEPKS1_S3_PS1_EviT2_lT3_lT_lT4_lS7_li ; -- Begin function _ZL19rocblas_axpy_kernelIlLi256E19rocblas_complex_numIfEPKS1_S3_PS1_EviT2_lT3_lT_lT4_lS7_li
	.p2align	8
	.type	_ZL19rocblas_axpy_kernelIlLi256E19rocblas_complex_numIfEPKS1_S3_PS1_EviT2_lT3_lT_lT4_lS7_li,@function
_ZL19rocblas_axpy_kernelIlLi256E19rocblas_complex_numIfEPKS1_S3_PS1_EviT2_lT3_lT_lT4_lS7_li: ; @_ZL19rocblas_axpy_kernelIlLi256E19rocblas_complex_numIfEPKS1_S3_PS1_EviT2_lT3_lT_lT4_lS7_li
; %bb.0:
	s_clause 0x1
	s_load_b128 s[4:7], s[0:1], 0x8
	s_load_b32 s8, s[0:1], 0x0
	v_mov_b32_e32 v1, 0
	v_lshl_or_b32 v0, s14, 8, v0
	s_waitcnt lgkmcnt(0)
	s_mul_i32 s3, s15, s7
	s_mul_hi_u32 s7, s15, s6
	s_mul_i32 s2, s15, s6
	s_add_i32 s3, s7, s3
	s_ashr_i32 s9, s8, 31
	s_lshl_b64 s[2:3], s[2:3], 3
	v_cmp_gt_i64_e32 vcc_lo, s[8:9], v[0:1]
	s_add_u32 s2, s4, s2
	s_addc_u32 s3, s5, s3
	s_load_b64 s[2:3], s[2:3], 0x0
	s_waitcnt lgkmcnt(0)
	s_or_b32 s4, s2, s3
	s_delay_alu instid0(SALU_CYCLE_1) | instskip(NEXT) | instid1(SALU_CYCLE_1)
	s_bitset0_b32 s4, 31
	s_cmp_lg_u32 s4, 0
	s_cselect_b32 s4, -1, 0
	s_delay_alu instid0(SALU_CYCLE_1) | instskip(NEXT) | instid1(SALU_CYCLE_1)
	s_and_b32 s4, vcc_lo, s4
	s_and_saveexec_b32 s5, s4
	s_cbranch_execz .LBB46_2
; %bb.1:
	s_clause 0x3
	s_load_b128 s[16:19], s[0:1], 0x20
	s_load_b256 s[4:11], s[0:1], 0x30
	s_load_b64 s[12:13], s[0:1], 0x50
	s_load_b64 s[0:1], s[0:1], 0x18
	s_waitcnt lgkmcnt(0)
	v_mad_u64_u32 v[1:2], null, v0, s18, 0
	v_mad_u64_u32 v[3:4], null, v0, s10, 0
	s_mul_i32 s5, s15, s5
	s_mul_hi_u32 s14, s15, s4
	s_mul_i32 s4, s15, s4
	s_add_i32 s5, s14, s5
	s_mul_i32 s13, s15, s13
	s_lshl_b64 s[4:5], s[4:5], 3
	s_delay_alu instid0(VALU_DEP_1)
	v_mad_u64_u32 v[5:6], null, v0, s19, v[2:3]
	s_add_u32 s4, s0, s4
	s_addc_u32 s5, s1, s5
	s_lshl_b64 s[0:1], s[16:17], 3
	s_mul_hi_u32 s14, s15, s12
	s_add_u32 s4, s0, s4
	s_addc_u32 s5, s1, s5
	s_delay_alu instid0(VALU_DEP_1) | instskip(SKIP_3) | instid1(VALU_DEP_2)
	v_mov_b32_e32 v2, v5
	v_mad_u64_u32 v[5:6], null, v0, s11, v[4:5]
	s_mul_i32 s10, s15, s12
	s_add_i32 s11, s14, s13
	v_lshlrev_b64 v[0:1], 3, v[1:2]
	s_lshl_b64 s[0:1], s[10:11], 3
	s_delay_alu instid0(SALU_CYCLE_1) | instskip(SKIP_2) | instid1(VALU_DEP_1)
	s_add_u32 s6, s6, s0
	s_addc_u32 s7, s7, s1
	s_lshl_b64 s[0:1], s[8:9], 3
	v_add_co_u32 v0, vcc_lo, s4, v0
	v_add_co_ci_u32_e32 v1, vcc_lo, s5, v1, vcc_lo
	s_add_u32 s0, s0, s6
	s_addc_u32 s1, s1, s7
	global_load_b64 v[0:1], v[0:1], off
	s_waitcnt vmcnt(0)
	v_mul_f32_e32 v6, s3, v1
	v_dual_mul_f32 v1, s2, v1 :: v_dual_mov_b32 v4, v5
	s_delay_alu instid0(VALU_DEP_2) | instskip(NEXT) | instid1(VALU_DEP_2)
	v_fma_f32 v6, v0, s2, -v6
	v_fmac_f32_e32 v1, s3, v0
	s_delay_alu instid0(VALU_DEP_3) | instskip(NEXT) | instid1(VALU_DEP_1)
	v_lshlrev_b64 v[2:3], 3, v[3:4]
	v_add_co_u32 v2, vcc_lo, s0, v2
	s_delay_alu instid0(VALU_DEP_2)
	v_add_co_ci_u32_e32 v3, vcc_lo, s1, v3, vcc_lo
	global_load_b64 v[4:5], v[2:3], off
	s_waitcnt vmcnt(0)
	v_dual_add_f32 v0, v6, v4 :: v_dual_add_f32 v1, v1, v5
	global_store_b64 v[2:3], v[0:1], off
.LBB46_2:
	s_nop 0
	s_sendmsg sendmsg(MSG_DEALLOC_VGPRS)
	s_endpgm
	.section	.rodata,"a",@progbits
	.p2align	6, 0x0
	.amdhsa_kernel _ZL19rocblas_axpy_kernelIlLi256E19rocblas_complex_numIfEPKS1_S3_PS1_EviT2_lT3_lT_lT4_lS7_li
		.amdhsa_group_segment_fixed_size 0
		.amdhsa_private_segment_fixed_size 0
		.amdhsa_kernarg_size 92
		.amdhsa_user_sgpr_count 14
		.amdhsa_user_sgpr_dispatch_ptr 0
		.amdhsa_user_sgpr_queue_ptr 0
		.amdhsa_user_sgpr_kernarg_segment_ptr 1
		.amdhsa_user_sgpr_dispatch_id 0
		.amdhsa_user_sgpr_private_segment_size 0
		.amdhsa_wavefront_size32 1
		.amdhsa_uses_dynamic_stack 0
		.amdhsa_enable_private_segment 0
		.amdhsa_system_sgpr_workgroup_id_x 1
		.amdhsa_system_sgpr_workgroup_id_y 0
		.amdhsa_system_sgpr_workgroup_id_z 1
		.amdhsa_system_sgpr_workgroup_info 0
		.amdhsa_system_vgpr_workitem_id 0
		.amdhsa_next_free_vgpr 7
		.amdhsa_next_free_sgpr 20
		.amdhsa_reserve_vcc 1
		.amdhsa_float_round_mode_32 0
		.amdhsa_float_round_mode_16_64 0
		.amdhsa_float_denorm_mode_32 3
		.amdhsa_float_denorm_mode_16_64 3
		.amdhsa_dx10_clamp 1
		.amdhsa_ieee_mode 1
		.amdhsa_fp16_overflow 0
		.amdhsa_workgroup_processor_mode 1
		.amdhsa_memory_ordered 1
		.amdhsa_forward_progress 0
		.amdhsa_shared_vgpr_count 0
		.amdhsa_exception_fp_ieee_invalid_op 0
		.amdhsa_exception_fp_denorm_src 0
		.amdhsa_exception_fp_ieee_div_zero 0
		.amdhsa_exception_fp_ieee_overflow 0
		.amdhsa_exception_fp_ieee_underflow 0
		.amdhsa_exception_fp_ieee_inexact 0
		.amdhsa_exception_int_div_zero 0
	.end_amdhsa_kernel
	.section	.text._ZL19rocblas_axpy_kernelIlLi256E19rocblas_complex_numIfEPKS1_S3_PS1_EviT2_lT3_lT_lT4_lS7_li,"axG",@progbits,_ZL19rocblas_axpy_kernelIlLi256E19rocblas_complex_numIfEPKS1_S3_PS1_EviT2_lT3_lT_lT4_lS7_li,comdat
.Lfunc_end46:
	.size	_ZL19rocblas_axpy_kernelIlLi256E19rocblas_complex_numIfEPKS1_S3_PS1_EviT2_lT3_lT_lT4_lS7_li, .Lfunc_end46-_ZL19rocblas_axpy_kernelIlLi256E19rocblas_complex_numIfEPKS1_S3_PS1_EviT2_lT3_lT_lT4_lS7_li
                                        ; -- End function
	.section	.AMDGPU.csdata,"",@progbits
; Kernel info:
; codeLenInByte = 416
; NumSgprs: 22
; NumVgprs: 7
; ScratchSize: 0
; MemoryBound: 0
; FloatMode: 240
; IeeeMode: 1
; LDSByteSize: 0 bytes/workgroup (compile time only)
; SGPRBlocks: 2
; VGPRBlocks: 0
; NumSGPRsForWavesPerEU: 22
; NumVGPRsForWavesPerEU: 7
; Occupancy: 16
; WaveLimiterHint : 0
; COMPUTE_PGM_RSRC2:SCRATCH_EN: 0
; COMPUTE_PGM_RSRC2:USER_SGPR: 14
; COMPUTE_PGM_RSRC2:TRAP_HANDLER: 0
; COMPUTE_PGM_RSRC2:TGID_X_EN: 1
; COMPUTE_PGM_RSRC2:TGID_Y_EN: 0
; COMPUTE_PGM_RSRC2:TGID_Z_EN: 1
; COMPUTE_PGM_RSRC2:TIDIG_COMP_CNT: 0
	.section	.text._ZL19rocblas_axpy_kernelIlLi256E19rocblas_complex_numIfES1_PKS1_PS1_EviT2_lT3_lT_lT4_lS7_li,"axG",@progbits,_ZL19rocblas_axpy_kernelIlLi256E19rocblas_complex_numIfES1_PKS1_PS1_EviT2_lT3_lT_lT4_lS7_li,comdat
	.globl	_ZL19rocblas_axpy_kernelIlLi256E19rocblas_complex_numIfES1_PKS1_PS1_EviT2_lT3_lT_lT4_lS7_li ; -- Begin function _ZL19rocblas_axpy_kernelIlLi256E19rocblas_complex_numIfES1_PKS1_PS1_EviT2_lT3_lT_lT4_lS7_li
	.p2align	8
	.type	_ZL19rocblas_axpy_kernelIlLi256E19rocblas_complex_numIfES1_PKS1_PS1_EviT2_lT3_lT_lT4_lS7_li,@function
_ZL19rocblas_axpy_kernelIlLi256E19rocblas_complex_numIfES1_PKS1_PS1_EviT2_lT3_lT_lT4_lS7_li: ; @_ZL19rocblas_axpy_kernelIlLi256E19rocblas_complex_numIfES1_PKS1_PS1_EviT2_lT3_lT_lT4_lS7_li
; %bb.0:
	s_load_b128 s[16:19], s[0:1], 0x0
	v_mov_b32_e32 v1, 0
	v_lshl_or_b32 v0, s14, 8, v0
	s_waitcnt lgkmcnt(0)
	s_or_b32 s2, s17, s18
	s_delay_alu instid0(SALU_CYCLE_1) | instskip(NEXT) | instid1(SALU_CYCLE_1)
	s_bitset0_b32 s2, 31
	s_cmp_lg_u32 s2, 0
	s_mov_b32 s2, s16
	s_cselect_b32 s4, -1, 0
	s_ashr_i32 s3, s16, 31
	s_delay_alu instid0(SALU_CYCLE_1) | instskip(SKIP_1) | instid1(SALU_CYCLE_1)
	v_cmp_gt_i64_e32 vcc_lo, s[2:3], v[0:1]
	s_and_b32 s2, vcc_lo, s4
	s_and_saveexec_b32 s3, s2
	s_cbranch_execz .LBB47_2
; %bb.1:
	s_clause 0x3
	s_load_b128 s[20:23], s[0:1], 0x20
	s_load_b256 s[4:11], s[0:1], 0x30
	s_load_b64 s[2:3], s[0:1], 0x50
	s_load_b64 s[0:1], s[0:1], 0x18
	s_waitcnt lgkmcnt(0)
	v_mad_u64_u32 v[1:2], null, v0, s22, 0
	v_mad_u64_u32 v[3:4], null, v0, s10, 0
	s_mul_i32 s5, s15, s5
	s_mul_hi_u32 s12, s15, s4
	s_mul_i32 s4, s15, s4
	s_add_i32 s5, s12, s5
	s_mul_i32 s3, s15, s3
	s_lshl_b64 s[4:5], s[4:5], 3
	s_delay_alu instid0(VALU_DEP_1)
	v_mad_u64_u32 v[5:6], null, v0, s23, v[2:3]
	s_add_u32 s4, s0, s4
	s_addc_u32 s5, s1, s5
	s_lshl_b64 s[0:1], s[20:21], 3
	s_mul_hi_u32 s10, s15, s2
	s_add_u32 s4, s0, s4
	s_addc_u32 s5, s1, s5
	s_delay_alu instid0(VALU_DEP_1) | instskip(SKIP_3) | instid1(VALU_DEP_2)
	v_mov_b32_e32 v2, v5
	v_mad_u64_u32 v[5:6], null, v0, s11, v[4:5]
	s_mul_i32 s2, s15, s2
	s_add_i32 s3, s10, s3
	v_lshlrev_b64 v[0:1], 3, v[1:2]
	s_lshl_b64 s[0:1], s[2:3], 3
	s_delay_alu instid0(SALU_CYCLE_1) | instskip(SKIP_2) | instid1(VALU_DEP_1)
	s_add_u32 s2, s6, s0
	s_addc_u32 s3, s7, s1
	s_lshl_b64 s[0:1], s[8:9], 3
	v_add_co_u32 v0, vcc_lo, s4, v0
	v_add_co_ci_u32_e32 v1, vcc_lo, s5, v1, vcc_lo
	s_add_u32 s0, s0, s2
	s_addc_u32 s1, s1, s3
	global_load_b64 v[0:1], v[0:1], off
	s_waitcnt vmcnt(0)
	v_mul_f32_e32 v6, s18, v1
	v_dual_mul_f32 v1, s17, v1 :: v_dual_mov_b32 v4, v5
	s_delay_alu instid0(VALU_DEP_2) | instskip(NEXT) | instid1(VALU_DEP_2)
	v_fma_f32 v6, v0, s17, -v6
	v_fmac_f32_e32 v1, s18, v0
	s_delay_alu instid0(VALU_DEP_3) | instskip(NEXT) | instid1(VALU_DEP_1)
	v_lshlrev_b64 v[2:3], 3, v[3:4]
	v_add_co_u32 v2, vcc_lo, s0, v2
	s_delay_alu instid0(VALU_DEP_2)
	v_add_co_ci_u32_e32 v3, vcc_lo, s1, v3, vcc_lo
	global_load_b64 v[4:5], v[2:3], off
	s_waitcnt vmcnt(0)
	v_dual_add_f32 v0, v6, v4 :: v_dual_add_f32 v1, v1, v5
	global_store_b64 v[2:3], v[0:1], off
.LBB47_2:
	s_nop 0
	s_sendmsg sendmsg(MSG_DEALLOC_VGPRS)
	s_endpgm
	.section	.rodata,"a",@progbits
	.p2align	6, 0x0
	.amdhsa_kernel _ZL19rocblas_axpy_kernelIlLi256E19rocblas_complex_numIfES1_PKS1_PS1_EviT2_lT3_lT_lT4_lS7_li
		.amdhsa_group_segment_fixed_size 0
		.amdhsa_private_segment_fixed_size 0
		.amdhsa_kernarg_size 92
		.amdhsa_user_sgpr_count 14
		.amdhsa_user_sgpr_dispatch_ptr 0
		.amdhsa_user_sgpr_queue_ptr 0
		.amdhsa_user_sgpr_kernarg_segment_ptr 1
		.amdhsa_user_sgpr_dispatch_id 0
		.amdhsa_user_sgpr_private_segment_size 0
		.amdhsa_wavefront_size32 1
		.amdhsa_uses_dynamic_stack 0
		.amdhsa_enable_private_segment 0
		.amdhsa_system_sgpr_workgroup_id_x 1
		.amdhsa_system_sgpr_workgroup_id_y 0
		.amdhsa_system_sgpr_workgroup_id_z 1
		.amdhsa_system_sgpr_workgroup_info 0
		.amdhsa_system_vgpr_workitem_id 0
		.amdhsa_next_free_vgpr 7
		.amdhsa_next_free_sgpr 24
		.amdhsa_reserve_vcc 1
		.amdhsa_float_round_mode_32 0
		.amdhsa_float_round_mode_16_64 0
		.amdhsa_float_denorm_mode_32 3
		.amdhsa_float_denorm_mode_16_64 3
		.amdhsa_dx10_clamp 1
		.amdhsa_ieee_mode 1
		.amdhsa_fp16_overflow 0
		.amdhsa_workgroup_processor_mode 1
		.amdhsa_memory_ordered 1
		.amdhsa_forward_progress 0
		.amdhsa_shared_vgpr_count 0
		.amdhsa_exception_fp_ieee_invalid_op 0
		.amdhsa_exception_fp_denorm_src 0
		.amdhsa_exception_fp_ieee_div_zero 0
		.amdhsa_exception_fp_ieee_overflow 0
		.amdhsa_exception_fp_ieee_underflow 0
		.amdhsa_exception_fp_ieee_inexact 0
		.amdhsa_exception_int_div_zero 0
	.end_amdhsa_kernel
	.section	.text._ZL19rocblas_axpy_kernelIlLi256E19rocblas_complex_numIfES1_PKS1_PS1_EviT2_lT3_lT_lT4_lS7_li,"axG",@progbits,_ZL19rocblas_axpy_kernelIlLi256E19rocblas_complex_numIfES1_PKS1_PS1_EviT2_lT3_lT_lT4_lS7_li,comdat
.Lfunc_end47:
	.size	_ZL19rocblas_axpy_kernelIlLi256E19rocblas_complex_numIfES1_PKS1_PS1_EviT2_lT3_lT_lT4_lS7_li, .Lfunc_end47-_ZL19rocblas_axpy_kernelIlLi256E19rocblas_complex_numIfES1_PKS1_PS1_EviT2_lT3_lT_lT4_lS7_li
                                        ; -- End function
	.section	.AMDGPU.csdata,"",@progbits
; Kernel info:
; codeLenInByte = 368
; NumSgprs: 26
; NumVgprs: 7
; ScratchSize: 0
; MemoryBound: 0
; FloatMode: 240
; IeeeMode: 1
; LDSByteSize: 0 bytes/workgroup (compile time only)
; SGPRBlocks: 3
; VGPRBlocks: 0
; NumSGPRsForWavesPerEU: 26
; NumVGPRsForWavesPerEU: 7
; Occupancy: 16
; WaveLimiterHint : 0
; COMPUTE_PGM_RSRC2:SCRATCH_EN: 0
; COMPUTE_PGM_RSRC2:USER_SGPR: 14
; COMPUTE_PGM_RSRC2:TRAP_HANDLER: 0
; COMPUTE_PGM_RSRC2:TGID_X_EN: 1
; COMPUTE_PGM_RSRC2:TGID_Y_EN: 0
; COMPUTE_PGM_RSRC2:TGID_Z_EN: 1
; COMPUTE_PGM_RSRC2:TIDIG_COMP_CNT: 0
	.section	.text._ZL26rocblas_haxpy_mlt_8_kernelILi256EPKDF16_PK19rocblas_complex_numIdEPS3_EviT0_lT1_llT2_lli,"axG",@progbits,_ZL26rocblas_haxpy_mlt_8_kernelILi256EPKDF16_PK19rocblas_complex_numIdEPS3_EviT0_lT1_llT2_lli,comdat
	.globl	_ZL26rocblas_haxpy_mlt_8_kernelILi256EPKDF16_PK19rocblas_complex_numIdEPS3_EviT0_lT1_llT2_lli ; -- Begin function _ZL26rocblas_haxpy_mlt_8_kernelILi256EPKDF16_PK19rocblas_complex_numIdEPS3_EviT0_lT1_llT2_lli
	.p2align	8
	.type	_ZL26rocblas_haxpy_mlt_8_kernelILi256EPKDF16_PK19rocblas_complex_numIdEPS3_EviT0_lT1_llT2_lli,@function
_ZL26rocblas_haxpy_mlt_8_kernelILi256EPKDF16_PK19rocblas_complex_numIdEPS3_EviT0_lT1_llT2_lli: ; @_ZL26rocblas_haxpy_mlt_8_kernelILi256EPKDF16_PK19rocblas_complex_numIdEPS3_EviT0_lT1_llT2_lli
; %bb.0:
	s_load_b512 s[16:31], s[0:1], 0x8
	v_mov_b32_e32 v1, 0
	s_waitcnt lgkmcnt(0)
	s_mul_i32 s3, s15, s19
	s_mul_hi_u32 s4, s15, s18
	s_mul_i32 s2, s15, s18
	s_add_i32 s3, s4, s3
	s_delay_alu instid0(SALU_CYCLE_1) | instskip(NEXT) | instid1(SALU_CYCLE_1)
	s_lshl_b64 s[2:3], s[2:3], 1
	s_add_u32 s2, s16, s2
	s_addc_u32 s3, s17, s3
	global_load_u16 v2, v1, s[2:3]
	s_waitcnt vmcnt(0)
	v_and_b32_e32 v3, 0xffff, v2
	s_delay_alu instid0(VALU_DEP_1) | instskip(NEXT) | instid1(VALU_DEP_1)
	v_lshl_or_b32 v3, v2, 16, v3
	v_and_b32_e32 v3, 0x7fff, v3
	s_delay_alu instid0(VALU_DEP_1)
	v_cmp_eq_u32_e32 vcc_lo, 0, v3
	s_cbranch_vccnz .LBB48_3
; %bb.1:
	s_load_b32 s0, s[0:1], 0x0
	v_lshl_or_b32 v0, s14, 8, v0
	s_delay_alu instid0(VALU_DEP_1)
	v_lshlrev_b64 v[0:1], 3, v[0:1]
	s_waitcnt lgkmcnt(0)
	s_ashr_i32 s1, s0, 31
	s_delay_alu instid0(VALU_DEP_1) | instid1(SALU_CYCLE_1)
	v_cmp_gt_i64_e32 vcc_lo, s[0:1], v[0:1]
	s_and_saveexec_b32 s0, vcc_lo
	s_cbranch_execz .LBB48_3
; %bb.2:
	s_mul_i32 s1, s15, s25
	s_mul_hi_u32 s2, s15, s24
	s_mul_i32 s0, s15, s24
	s_add_i32 s1, s2, s1
	s_mul_i32 s4, s15, s31
	s_lshl_b64 s[0:1], s[0:1], 4
	v_lshlrev_b64 v[0:1], 4, v[0:1]
	s_add_u32 s2, s20, s0
	s_addc_u32 s3, s21, s1
	s_lshl_b64 s[0:1], s[22:23], 4
	s_delay_alu instid0(SALU_CYCLE_1)
	s_add_u32 s2, s0, s2
	s_mul_hi_u32 s0, s15, s30
	s_addc_u32 s3, s1, s3
	s_add_i32 s1, s0, s4
	s_mul_i32 s0, s15, s30
	v_add_co_u32 v3, vcc_lo, s2, v0
	s_lshl_b64 s[0:1], s[0:1], 4
	v_add_co_ci_u32_e32 v4, vcc_lo, s3, v1, vcc_lo
	s_add_u32 s4, s26, s0
	s_addc_u32 s5, s27, s1
	s_lshl_b64 s[0:1], s[28:29], 4
	s_delay_alu instid0(SALU_CYCLE_1)
	s_add_u32 s0, s0, s4
	s_addc_u32 s1, s1, s5
	v_add_co_u32 v0, vcc_lo, s0, v0
	v_add_co_ci_u32_e32 v1, vcc_lo, s1, v1, vcc_lo
	global_load_b128 v[3:6], v[3:4], off
	global_load_b128 v[7:10], v[0:1], off
	s_waitcnt vmcnt(0)
	v_pk_fma_f16 v6, v2, v6, v10 op_sel_hi:[0,1,1]
	v_pk_fma_f16 v5, v2, v5, v9 op_sel_hi:[0,1,1]
	;; [unrolled: 1-line block ×4, first 2 shown]
	global_store_b128 v[0:1], v[3:6], off
.LBB48_3:
	s_nop 0
	s_sendmsg sendmsg(MSG_DEALLOC_VGPRS)
	s_endpgm
	.section	.rodata,"a",@progbits
	.p2align	6, 0x0
	.amdhsa_kernel _ZL26rocblas_haxpy_mlt_8_kernelILi256EPKDF16_PK19rocblas_complex_numIdEPS3_EviT0_lT1_llT2_lli
		.amdhsa_group_segment_fixed_size 0
		.amdhsa_private_segment_fixed_size 0
		.amdhsa_kernarg_size 76
		.amdhsa_user_sgpr_count 14
		.amdhsa_user_sgpr_dispatch_ptr 0
		.amdhsa_user_sgpr_queue_ptr 0
		.amdhsa_user_sgpr_kernarg_segment_ptr 1
		.amdhsa_user_sgpr_dispatch_id 0
		.amdhsa_user_sgpr_private_segment_size 0
		.amdhsa_wavefront_size32 1
		.amdhsa_uses_dynamic_stack 0
		.amdhsa_enable_private_segment 0
		.amdhsa_system_sgpr_workgroup_id_x 1
		.amdhsa_system_sgpr_workgroup_id_y 0
		.amdhsa_system_sgpr_workgroup_id_z 1
		.amdhsa_system_sgpr_workgroup_info 0
		.amdhsa_system_vgpr_workitem_id 0
		.amdhsa_next_free_vgpr 11
		.amdhsa_next_free_sgpr 32
		.amdhsa_reserve_vcc 1
		.amdhsa_float_round_mode_32 0
		.amdhsa_float_round_mode_16_64 0
		.amdhsa_float_denorm_mode_32 3
		.amdhsa_float_denorm_mode_16_64 3
		.amdhsa_dx10_clamp 1
		.amdhsa_ieee_mode 1
		.amdhsa_fp16_overflow 0
		.amdhsa_workgroup_processor_mode 1
		.amdhsa_memory_ordered 1
		.amdhsa_forward_progress 0
		.amdhsa_shared_vgpr_count 0
		.amdhsa_exception_fp_ieee_invalid_op 0
		.amdhsa_exception_fp_denorm_src 0
		.amdhsa_exception_fp_ieee_div_zero 0
		.amdhsa_exception_fp_ieee_overflow 0
		.amdhsa_exception_fp_ieee_underflow 0
		.amdhsa_exception_fp_ieee_inexact 0
		.amdhsa_exception_int_div_zero 0
	.end_amdhsa_kernel
	.section	.text._ZL26rocblas_haxpy_mlt_8_kernelILi256EPKDF16_PK19rocblas_complex_numIdEPS3_EviT0_lT1_llT2_lli,"axG",@progbits,_ZL26rocblas_haxpy_mlt_8_kernelILi256EPKDF16_PK19rocblas_complex_numIdEPS3_EviT0_lT1_llT2_lli,comdat
.Lfunc_end48:
	.size	_ZL26rocblas_haxpy_mlt_8_kernelILi256EPKDF16_PK19rocblas_complex_numIdEPS3_EviT0_lT1_llT2_lli, .Lfunc_end48-_ZL26rocblas_haxpy_mlt_8_kernelILi256EPKDF16_PK19rocblas_complex_numIdEPS3_EviT0_lT1_llT2_lli
                                        ; -- End function
	.section	.AMDGPU.csdata,"",@progbits
; Kernel info:
; codeLenInByte = 344
; NumSgprs: 34
; NumVgprs: 11
; ScratchSize: 0
; MemoryBound: 0
; FloatMode: 240
; IeeeMode: 1
; LDSByteSize: 0 bytes/workgroup (compile time only)
; SGPRBlocks: 4
; VGPRBlocks: 1
; NumSGPRsForWavesPerEU: 34
; NumVGPRsForWavesPerEU: 11
; Occupancy: 16
; WaveLimiterHint : 0
; COMPUTE_PGM_RSRC2:SCRATCH_EN: 0
; COMPUTE_PGM_RSRC2:USER_SGPR: 14
; COMPUTE_PGM_RSRC2:TRAP_HANDLER: 0
; COMPUTE_PGM_RSRC2:TGID_X_EN: 1
; COMPUTE_PGM_RSRC2:TGID_Y_EN: 0
; COMPUTE_PGM_RSRC2:TGID_Z_EN: 1
; COMPUTE_PGM_RSRC2:TIDIG_COMP_CNT: 0
	.section	.text._ZL26rocblas_haxpy_mod_8_kernelILi256EPK19rocblas_complex_numIdES3_PS1_EviT0_lT1_llT2_lli,"axG",@progbits,_ZL26rocblas_haxpy_mod_8_kernelILi256EPK19rocblas_complex_numIdES3_PS1_EviT0_lT1_llT2_lli,comdat
	.globl	_ZL26rocblas_haxpy_mod_8_kernelILi256EPK19rocblas_complex_numIdES3_PS1_EviT0_lT1_llT2_lli ; -- Begin function _ZL26rocblas_haxpy_mod_8_kernelILi256EPK19rocblas_complex_numIdES3_PS1_EviT0_lT1_llT2_lli
	.p2align	8
	.type	_ZL26rocblas_haxpy_mod_8_kernelILi256EPK19rocblas_complex_numIdES3_PS1_EviT0_lT1_llT2_lli,@function
_ZL26rocblas_haxpy_mod_8_kernelILi256EPK19rocblas_complex_numIdES3_PS1_EviT0_lT1_llT2_lli: ; @_ZL26rocblas_haxpy_mod_8_kernelILi256EPK19rocblas_complex_numIdES3_PS1_EviT0_lT1_llT2_lli
; %bb.0:
	s_clause 0x1
	s_load_b512 s[16:31], s[0:1], 0x8
	s_load_b32 s4, s[0:1], 0x0
	v_lshl_or_b32 v0, s14, 8, v0
	v_mov_b32_e32 v1, 0
	s_waitcnt lgkmcnt(0)
	s_mul_i32 s1, s15, s19
	s_mul_hi_u32 s2, s15, s18
	s_mul_i32 s0, s15, s18
	s_add_i32 s1, s2, s1
	s_ashr_i32 s5, s4, 31
	s_lshl_b64 s[0:1], s[0:1], 4
	v_cmp_gt_i64_e32 vcc_lo, s[4:5], v[0:1]
	s_add_u32 s0, s16, s0
	s_addc_u32 s1, s17, s1
	s_load_b128 s[0:3], s[0:1], 0x0
	s_waitcnt lgkmcnt(0)
	v_cmp_neq_f64_e64 s6, s[0:1], 0
	v_cmp_neq_f64_e64 s7, s[2:3], 0
	s_delay_alu instid0(VALU_DEP_1) | instskip(NEXT) | instid1(SALU_CYCLE_1)
	s_or_b32 s4, s6, s7
	s_and_b32 s4, vcc_lo, s4
	s_delay_alu instid0(SALU_CYCLE_1)
	s_and_saveexec_b32 s5, s4
	s_cbranch_execz .LBB49_2
; %bb.1:
	s_mul_i32 s5, s15, s25
	s_mul_hi_u32 s6, s15, s24
	s_mul_i32 s4, s15, s24
	s_add_i32 s5, s6, s5
	v_lshlrev_b64 v[4:5], 4, v[0:1]
	s_lshl_b64 s[4:5], s[4:5], 4
	s_delay_alu instid0(SALU_CYCLE_1) | instskip(SKIP_2) | instid1(SALU_CYCLE_1)
	s_add_u32 s6, s20, s4
	s_addc_u32 s7, s21, s5
	s_lshl_b64 s[4:5], s[22:23], 4
	s_add_u32 s4, s4, s6
	s_addc_u32 s5, s5, s7
	v_add_co_u32 v0, vcc_lo, s4, v4
	v_add_co_ci_u32_e32 v1, vcc_lo, s5, v5, vcc_lo
	s_mul_i32 s5, s15, s31
	s_mul_hi_u32 s6, s15, s30
	s_mul_i32 s4, s15, s30
	global_load_b128 v[0:3], v[0:1], off
	s_add_i32 s5, s6, s5
	s_delay_alu instid0(SALU_CYCLE_1) | instskip(NEXT) | instid1(SALU_CYCLE_1)
	s_lshl_b64 s[4:5], s[4:5], 4
	s_add_u32 s6, s26, s4
	s_addc_u32 s7, s27, s5
	s_lshl_b64 s[4:5], s[28:29], 4
	s_delay_alu instid0(SALU_CYCLE_1)
	s_add_u32 s4, s4, s6
	s_addc_u32 s5, s5, s7
	v_add_co_u32 v8, vcc_lo, s4, v4
	v_add_co_ci_u32_e32 v9, vcc_lo, s5, v5, vcc_lo
	global_load_b128 v[4:7], v[8:9], off
	s_waitcnt vmcnt(1)
	v_mul_f64 v[10:11], s[2:3], v[2:3]
	v_mul_f64 v[2:3], s[0:1], v[2:3]
	s_delay_alu instid0(VALU_DEP_2) | instskip(NEXT) | instid1(VALU_DEP_2)
	v_fma_f64 v[10:11], s[0:1], v[0:1], -v[10:11]
	v_fma_f64 v[2:3], s[2:3], v[0:1], v[2:3]
	s_waitcnt vmcnt(0)
	s_delay_alu instid0(VALU_DEP_2) | instskip(NEXT) | instid1(VALU_DEP_2)
	v_add_f64 v[0:1], v[4:5], v[10:11]
	v_add_f64 v[2:3], v[6:7], v[2:3]
	global_store_b128 v[8:9], v[0:3], off
.LBB49_2:
	s_nop 0
	s_sendmsg sendmsg(MSG_DEALLOC_VGPRS)
	s_endpgm
	.section	.rodata,"a",@progbits
	.p2align	6, 0x0
	.amdhsa_kernel _ZL26rocblas_haxpy_mod_8_kernelILi256EPK19rocblas_complex_numIdES3_PS1_EviT0_lT1_llT2_lli
		.amdhsa_group_segment_fixed_size 0
		.amdhsa_private_segment_fixed_size 0
		.amdhsa_kernarg_size 76
		.amdhsa_user_sgpr_count 14
		.amdhsa_user_sgpr_dispatch_ptr 0
		.amdhsa_user_sgpr_queue_ptr 0
		.amdhsa_user_sgpr_kernarg_segment_ptr 1
		.amdhsa_user_sgpr_dispatch_id 0
		.amdhsa_user_sgpr_private_segment_size 0
		.amdhsa_wavefront_size32 1
		.amdhsa_uses_dynamic_stack 0
		.amdhsa_enable_private_segment 0
		.amdhsa_system_sgpr_workgroup_id_x 1
		.amdhsa_system_sgpr_workgroup_id_y 0
		.amdhsa_system_sgpr_workgroup_id_z 1
		.amdhsa_system_sgpr_workgroup_info 0
		.amdhsa_system_vgpr_workitem_id 0
		.amdhsa_next_free_vgpr 12
		.amdhsa_next_free_sgpr 32
		.amdhsa_reserve_vcc 1
		.amdhsa_float_round_mode_32 0
		.amdhsa_float_round_mode_16_64 0
		.amdhsa_float_denorm_mode_32 3
		.amdhsa_float_denorm_mode_16_64 3
		.amdhsa_dx10_clamp 1
		.amdhsa_ieee_mode 1
		.amdhsa_fp16_overflow 0
		.amdhsa_workgroup_processor_mode 1
		.amdhsa_memory_ordered 1
		.amdhsa_forward_progress 0
		.amdhsa_shared_vgpr_count 0
		.amdhsa_exception_fp_ieee_invalid_op 0
		.amdhsa_exception_fp_denorm_src 0
		.amdhsa_exception_fp_ieee_div_zero 0
		.amdhsa_exception_fp_ieee_overflow 0
		.amdhsa_exception_fp_ieee_underflow 0
		.amdhsa_exception_fp_ieee_inexact 0
		.amdhsa_exception_int_div_zero 0
	.end_amdhsa_kernel
	.section	.text._ZL26rocblas_haxpy_mod_8_kernelILi256EPK19rocblas_complex_numIdES3_PS1_EviT0_lT1_llT2_lli,"axG",@progbits,_ZL26rocblas_haxpy_mod_8_kernelILi256EPK19rocblas_complex_numIdES3_PS1_EviT0_lT1_llT2_lli,comdat
.Lfunc_end49:
	.size	_ZL26rocblas_haxpy_mod_8_kernelILi256EPK19rocblas_complex_numIdES3_PS1_EviT0_lT1_llT2_lli, .Lfunc_end49-_ZL26rocblas_haxpy_mod_8_kernelILi256EPK19rocblas_complex_numIdES3_PS1_EviT0_lT1_llT2_lli
                                        ; -- End function
	.section	.AMDGPU.csdata,"",@progbits
; Kernel info:
; codeLenInByte = 348
; NumSgprs: 34
; NumVgprs: 12
; ScratchSize: 0
; MemoryBound: 0
; FloatMode: 240
; IeeeMode: 1
; LDSByteSize: 0 bytes/workgroup (compile time only)
; SGPRBlocks: 4
; VGPRBlocks: 1
; NumSGPRsForWavesPerEU: 34
; NumVGPRsForWavesPerEU: 12
; Occupancy: 16
; WaveLimiterHint : 0
; COMPUTE_PGM_RSRC2:SCRATCH_EN: 0
; COMPUTE_PGM_RSRC2:USER_SGPR: 14
; COMPUTE_PGM_RSRC2:TRAP_HANDLER: 0
; COMPUTE_PGM_RSRC2:TGID_X_EN: 1
; COMPUTE_PGM_RSRC2:TGID_Y_EN: 0
; COMPUTE_PGM_RSRC2:TGID_Z_EN: 1
; COMPUTE_PGM_RSRC2:TIDIG_COMP_CNT: 0
	.section	.text._ZL26rocblas_haxpy_mlt_8_kernelILi256EDF16_PK19rocblas_complex_numIdEPS1_EviT0_lT1_llT2_lli,"axG",@progbits,_ZL26rocblas_haxpy_mlt_8_kernelILi256EDF16_PK19rocblas_complex_numIdEPS1_EviT0_lT1_llT2_lli,comdat
	.globl	_ZL26rocblas_haxpy_mlt_8_kernelILi256EDF16_PK19rocblas_complex_numIdEPS1_EviT0_lT1_llT2_lli ; -- Begin function _ZL26rocblas_haxpy_mlt_8_kernelILi256EDF16_PK19rocblas_complex_numIdEPS1_EviT0_lT1_llT2_lli
	.p2align	8
	.type	_ZL26rocblas_haxpy_mlt_8_kernelILi256EDF16_PK19rocblas_complex_numIdEPS1_EviT0_lT1_llT2_lli,@function
_ZL26rocblas_haxpy_mlt_8_kernelILi256EDF16_PK19rocblas_complex_numIdEPS1_EviT0_lT1_llT2_lli: ; @_ZL26rocblas_haxpy_mlt_8_kernelILi256EDF16_PK19rocblas_complex_numIdEPS1_EviT0_lT1_llT2_lli
; %bb.0:
	s_load_b64 s[2:3], s[0:1], 0x0
	s_waitcnt lgkmcnt(0)
	s_pack_ll_b32_b16 s4, s3, s3
	s_delay_alu instid0(SALU_CYCLE_1) | instskip(NEXT) | instid1(SALU_CYCLE_1)
	s_and_b32 s4, s4, 0x7fff
	s_cmp_eq_u32 s4, 0
	s_cbranch_scc1 .LBB50_3
; %bb.1:
	v_lshl_or_b32 v0, s14, 8, v0
	v_mov_b32_e32 v1, 0
	s_ashr_i32 s5, s2, 31
	s_mov_b32 s4, s2
	s_mov_b32 s2, exec_lo
	s_delay_alu instid0(VALU_DEP_1) | instskip(NEXT) | instid1(VALU_DEP_1)
	v_lshlrev_b64 v[0:1], 3, v[0:1]
	v_cmpx_gt_i64_e64 s[4:5], v[0:1]
	s_cbranch_execz .LBB50_3
; %bb.2:
	s_clause 0x1
	s_load_b256 s[4:11], s[0:1], 0x10
	s_load_b128 s[16:19], s[0:1], 0x30
	v_lshlrev_b64 v[0:1], 4, v[0:1]
	s_waitcnt lgkmcnt(0)
	s_mul_i32 s1, s15, s9
	s_mul_hi_u32 s2, s15, s8
	s_mul_i32 s0, s15, s8
	s_add_i32 s1, s2, s1
	s_mul_i32 s2, s15, s19
	s_lshl_b64 s[0:1], s[0:1], 4
	s_mul_hi_u32 s8, s15, s18
	s_add_u32 s9, s4, s0
	s_addc_u32 s5, s5, s1
	s_lshl_b64 s[0:1], s[6:7], 4
	s_mul_i32 s4, s15, s18
	s_add_u32 s6, s0, s9
	s_addc_u32 s7, s1, s5
	s_add_i32 s5, s8, s2
	v_add_co_u32 v2, vcc_lo, s6, v0
	s_lshl_b64 s[0:1], s[4:5], 4
	v_add_co_ci_u32_e32 v3, vcc_lo, s7, v1, vcc_lo
	s_add_u32 s2, s10, s0
	s_addc_u32 s4, s11, s1
	s_lshl_b64 s[0:1], s[16:17], 4
	s_delay_alu instid0(SALU_CYCLE_1)
	s_add_u32 s0, s0, s2
	s_addc_u32 s1, s1, s4
	v_add_co_u32 v8, vcc_lo, s0, v0
	v_add_co_ci_u32_e32 v9, vcc_lo, s1, v1, vcc_lo
	global_load_b128 v[0:3], v[2:3], off
	global_load_b128 v[4:7], v[8:9], off
	s_waitcnt vmcnt(0)
	v_pk_fma_f16 v3, s3, v3, v7 op_sel_hi:[0,1,1]
	v_pk_fma_f16 v2, s3, v2, v6 op_sel_hi:[0,1,1]
	;; [unrolled: 1-line block ×4, first 2 shown]
	global_store_b128 v[8:9], v[0:3], off
.LBB50_3:
	s_nop 0
	s_sendmsg sendmsg(MSG_DEALLOC_VGPRS)
	s_endpgm
	.section	.rodata,"a",@progbits
	.p2align	6, 0x0
	.amdhsa_kernel _ZL26rocblas_haxpy_mlt_8_kernelILi256EDF16_PK19rocblas_complex_numIdEPS1_EviT0_lT1_llT2_lli
		.amdhsa_group_segment_fixed_size 0
		.amdhsa_private_segment_fixed_size 0
		.amdhsa_kernarg_size 68
		.amdhsa_user_sgpr_count 14
		.amdhsa_user_sgpr_dispatch_ptr 0
		.amdhsa_user_sgpr_queue_ptr 0
		.amdhsa_user_sgpr_kernarg_segment_ptr 1
		.amdhsa_user_sgpr_dispatch_id 0
		.amdhsa_user_sgpr_private_segment_size 0
		.amdhsa_wavefront_size32 1
		.amdhsa_uses_dynamic_stack 0
		.amdhsa_enable_private_segment 0
		.amdhsa_system_sgpr_workgroup_id_x 1
		.amdhsa_system_sgpr_workgroup_id_y 0
		.amdhsa_system_sgpr_workgroup_id_z 1
		.amdhsa_system_sgpr_workgroup_info 0
		.amdhsa_system_vgpr_workitem_id 0
		.amdhsa_next_free_vgpr 10
		.amdhsa_next_free_sgpr 20
		.amdhsa_reserve_vcc 1
		.amdhsa_float_round_mode_32 0
		.amdhsa_float_round_mode_16_64 0
		.amdhsa_float_denorm_mode_32 3
		.amdhsa_float_denorm_mode_16_64 3
		.amdhsa_dx10_clamp 1
		.amdhsa_ieee_mode 1
		.amdhsa_fp16_overflow 0
		.amdhsa_workgroup_processor_mode 1
		.amdhsa_memory_ordered 1
		.amdhsa_forward_progress 0
		.amdhsa_shared_vgpr_count 0
		.amdhsa_exception_fp_ieee_invalid_op 0
		.amdhsa_exception_fp_denorm_src 0
		.amdhsa_exception_fp_ieee_div_zero 0
		.amdhsa_exception_fp_ieee_overflow 0
		.amdhsa_exception_fp_ieee_underflow 0
		.amdhsa_exception_fp_ieee_inexact 0
		.amdhsa_exception_int_div_zero 0
	.end_amdhsa_kernel
	.section	.text._ZL26rocblas_haxpy_mlt_8_kernelILi256EDF16_PK19rocblas_complex_numIdEPS1_EviT0_lT1_llT2_lli,"axG",@progbits,_ZL26rocblas_haxpy_mlt_8_kernelILi256EDF16_PK19rocblas_complex_numIdEPS1_EviT0_lT1_llT2_lli,comdat
.Lfunc_end50:
	.size	_ZL26rocblas_haxpy_mlt_8_kernelILi256EDF16_PK19rocblas_complex_numIdEPS1_EviT0_lT1_llT2_lli, .Lfunc_end50-_ZL26rocblas_haxpy_mlt_8_kernelILi256EDF16_PK19rocblas_complex_numIdEPS1_EviT0_lT1_llT2_lli
                                        ; -- End function
	.section	.AMDGPU.csdata,"",@progbits
; Kernel info:
; codeLenInByte = 296
; NumSgprs: 22
; NumVgprs: 10
; ScratchSize: 0
; MemoryBound: 0
; FloatMode: 240
; IeeeMode: 1
; LDSByteSize: 0 bytes/workgroup (compile time only)
; SGPRBlocks: 2
; VGPRBlocks: 1
; NumSGPRsForWavesPerEU: 22
; NumVGPRsForWavesPerEU: 10
; Occupancy: 16
; WaveLimiterHint : 0
; COMPUTE_PGM_RSRC2:SCRATCH_EN: 0
; COMPUTE_PGM_RSRC2:USER_SGPR: 14
; COMPUTE_PGM_RSRC2:TRAP_HANDLER: 0
; COMPUTE_PGM_RSRC2:TGID_X_EN: 1
; COMPUTE_PGM_RSRC2:TGID_Y_EN: 0
; COMPUTE_PGM_RSRC2:TGID_Z_EN: 1
; COMPUTE_PGM_RSRC2:TIDIG_COMP_CNT: 0
	.section	.text._ZL26rocblas_haxpy_mod_8_kernelILi256E19rocblas_complex_numIdEPKS1_PS1_EviT0_lT1_llT2_lli,"axG",@progbits,_ZL26rocblas_haxpy_mod_8_kernelILi256E19rocblas_complex_numIdEPKS1_PS1_EviT0_lT1_llT2_lli,comdat
	.globl	_ZL26rocblas_haxpy_mod_8_kernelILi256E19rocblas_complex_numIdEPKS1_PS1_EviT0_lT1_llT2_lli ; -- Begin function _ZL26rocblas_haxpy_mod_8_kernelILi256E19rocblas_complex_numIdEPKS1_PS1_EviT0_lT1_llT2_lli
	.p2align	8
	.type	_ZL26rocblas_haxpy_mod_8_kernelILi256E19rocblas_complex_numIdEPKS1_PS1_EviT0_lT1_llT2_lli,@function
_ZL26rocblas_haxpy_mod_8_kernelILi256E19rocblas_complex_numIdEPKS1_PS1_EviT0_lT1_llT2_lli: ; @_ZL26rocblas_haxpy_mod_8_kernelILi256E19rocblas_complex_numIdEPKS1_PS1_EviT0_lT1_llT2_lli
; %bb.0:
	s_clause 0x1
	s_load_b128 s[16:19], s[0:1], 0x8
	s_load_b32 s2, s[0:1], 0x0
	v_lshl_or_b32 v0, s14, 8, v0
	v_mov_b32_e32 v1, 0
	s_waitcnt lgkmcnt(0)
	v_cmp_neq_f64_e64 s4, s[16:17], 0
	v_cmp_neq_f64_e64 s5, s[18:19], 0
	s_ashr_i32 s3, s2, 31
	s_delay_alu instid0(SALU_CYCLE_1) | instskip(NEXT) | instid1(VALU_DEP_2)
	v_cmp_gt_i64_e32 vcc_lo, s[2:3], v[0:1]
	s_or_b32 s2, s4, s5
	s_delay_alu instid0(SALU_CYCLE_1) | instskip(NEXT) | instid1(SALU_CYCLE_1)
	s_and_b32 s2, vcc_lo, s2
	s_and_saveexec_b32 s3, s2
	s_cbranch_execz .LBB51_2
; %bb.1:
	s_load_b256 s[4:11], s[0:1], 0x20
	v_lshlrev_b64 v[4:5], 4, v[0:1]
	s_waitcnt lgkmcnt(0)
	s_mul_i32 s3, s15, s9
	s_mul_hi_u32 s9, s15, s8
	s_mul_i32 s2, s15, s8
	s_add_i32 s3, s9, s3
	s_delay_alu instid0(SALU_CYCLE_1) | instskip(NEXT) | instid1(SALU_CYCLE_1)
	s_lshl_b64 s[2:3], s[2:3], 4
	s_add_u32 s4, s4, s2
	s_addc_u32 s5, s5, s3
	s_lshl_b64 s[2:3], s[6:7], 4
	s_delay_alu instid0(SALU_CYCLE_1)
	s_add_u32 s2, s2, s4
	s_addc_u32 s3, s3, s5
	v_add_co_u32 v0, vcc_lo, s2, v4
	v_add_co_ci_u32_e32 v1, vcc_lo, s3, v5, vcc_lo
	s_load_b128 s[0:3], s[0:1], 0x40
	global_load_b128 v[0:3], v[0:1], off
	s_waitcnt lgkmcnt(0)
	s_mul_i32 s3, s15, s3
	s_mul_hi_u32 s4, s15, s2
	s_mul_i32 s2, s15, s2
	s_add_i32 s3, s4, s3
	s_delay_alu instid0(SALU_CYCLE_1) | instskip(NEXT) | instid1(SALU_CYCLE_1)
	s_lshl_b64 s[2:3], s[2:3], 4
	s_add_u32 s2, s10, s2
	s_addc_u32 s3, s11, s3
	s_lshl_b64 s[0:1], s[0:1], 4
	s_delay_alu instid0(SALU_CYCLE_1)
	s_add_u32 s0, s0, s2
	s_addc_u32 s1, s1, s3
	v_add_co_u32 v8, vcc_lo, s0, v4
	v_add_co_ci_u32_e32 v9, vcc_lo, s1, v5, vcc_lo
	global_load_b128 v[4:7], v[8:9], off
	s_waitcnt vmcnt(1)
	v_mul_f64 v[10:11], s[18:19], v[2:3]
	v_mul_f64 v[2:3], s[16:17], v[2:3]
	s_delay_alu instid0(VALU_DEP_2) | instskip(NEXT) | instid1(VALU_DEP_2)
	v_fma_f64 v[10:11], s[16:17], v[0:1], -v[10:11]
	v_fma_f64 v[2:3], s[18:19], v[0:1], v[2:3]
	s_waitcnt vmcnt(0)
	s_delay_alu instid0(VALU_DEP_2) | instskip(NEXT) | instid1(VALU_DEP_2)
	v_add_f64 v[0:1], v[4:5], v[10:11]
	v_add_f64 v[2:3], v[6:7], v[2:3]
	global_store_b128 v[8:9], v[0:3], off
.LBB51_2:
	s_nop 0
	s_sendmsg sendmsg(MSG_DEALLOC_VGPRS)
	s_endpgm
	.section	.rodata,"a",@progbits
	.p2align	6, 0x0
	.amdhsa_kernel _ZL26rocblas_haxpy_mod_8_kernelILi256E19rocblas_complex_numIdEPKS1_PS1_EviT0_lT1_llT2_lli
		.amdhsa_group_segment_fixed_size 0
		.amdhsa_private_segment_fixed_size 0
		.amdhsa_kernarg_size 84
		.amdhsa_user_sgpr_count 14
		.amdhsa_user_sgpr_dispatch_ptr 0
		.amdhsa_user_sgpr_queue_ptr 0
		.amdhsa_user_sgpr_kernarg_segment_ptr 1
		.amdhsa_user_sgpr_dispatch_id 0
		.amdhsa_user_sgpr_private_segment_size 0
		.amdhsa_wavefront_size32 1
		.amdhsa_uses_dynamic_stack 0
		.amdhsa_enable_private_segment 0
		.amdhsa_system_sgpr_workgroup_id_x 1
		.amdhsa_system_sgpr_workgroup_id_y 0
		.amdhsa_system_sgpr_workgroup_id_z 1
		.amdhsa_system_sgpr_workgroup_info 0
		.amdhsa_system_vgpr_workitem_id 0
		.amdhsa_next_free_vgpr 12
		.amdhsa_next_free_sgpr 20
		.amdhsa_reserve_vcc 1
		.amdhsa_float_round_mode_32 0
		.amdhsa_float_round_mode_16_64 0
		.amdhsa_float_denorm_mode_32 3
		.amdhsa_float_denorm_mode_16_64 3
		.amdhsa_dx10_clamp 1
		.amdhsa_ieee_mode 1
		.amdhsa_fp16_overflow 0
		.amdhsa_workgroup_processor_mode 1
		.amdhsa_memory_ordered 1
		.amdhsa_forward_progress 0
		.amdhsa_shared_vgpr_count 0
		.amdhsa_exception_fp_ieee_invalid_op 0
		.amdhsa_exception_fp_denorm_src 0
		.amdhsa_exception_fp_ieee_div_zero 0
		.amdhsa_exception_fp_ieee_overflow 0
		.amdhsa_exception_fp_ieee_underflow 0
		.amdhsa_exception_fp_ieee_inexact 0
		.amdhsa_exception_int_div_zero 0
	.end_amdhsa_kernel
	.section	.text._ZL26rocblas_haxpy_mod_8_kernelILi256E19rocblas_complex_numIdEPKS1_PS1_EviT0_lT1_llT2_lli,"axG",@progbits,_ZL26rocblas_haxpy_mod_8_kernelILi256E19rocblas_complex_numIdEPKS1_PS1_EviT0_lT1_llT2_lli,comdat
.Lfunc_end51:
	.size	_ZL26rocblas_haxpy_mod_8_kernelILi256E19rocblas_complex_numIdEPKS1_PS1_EviT0_lT1_llT2_lli, .Lfunc_end51-_ZL26rocblas_haxpy_mod_8_kernelILi256E19rocblas_complex_numIdEPKS1_PS1_EviT0_lT1_llT2_lli
                                        ; -- End function
	.section	.AMDGPU.csdata,"",@progbits
; Kernel info:
; codeLenInByte = 336
; NumSgprs: 22
; NumVgprs: 12
; ScratchSize: 0
; MemoryBound: 0
; FloatMode: 240
; IeeeMode: 1
; LDSByteSize: 0 bytes/workgroup (compile time only)
; SGPRBlocks: 2
; VGPRBlocks: 1
; NumSGPRsForWavesPerEU: 22
; NumVGPRsForWavesPerEU: 12
; Occupancy: 16
; WaveLimiterHint : 0
; COMPUTE_PGM_RSRC2:SCRATCH_EN: 0
; COMPUTE_PGM_RSRC2:USER_SGPR: 14
; COMPUTE_PGM_RSRC2:TRAP_HANDLER: 0
; COMPUTE_PGM_RSRC2:TGID_X_EN: 1
; COMPUTE_PGM_RSRC2:TGID_Y_EN: 0
; COMPUTE_PGM_RSRC2:TGID_Z_EN: 1
; COMPUTE_PGM_RSRC2:TIDIG_COMP_CNT: 0
	.section	.text._ZL22rocblas_saxpy_2_kernelILi256E19rocblas_complex_numIdEPKS1_S3_PS1_EviT1_lT2_llT3_lli,"axG",@progbits,_ZL22rocblas_saxpy_2_kernelILi256E19rocblas_complex_numIdEPKS1_S3_PS1_EviT1_lT2_llT3_lli,comdat
	.globl	_ZL22rocblas_saxpy_2_kernelILi256E19rocblas_complex_numIdEPKS1_S3_PS1_EviT1_lT2_llT3_lli ; -- Begin function _ZL22rocblas_saxpy_2_kernelILi256E19rocblas_complex_numIdEPKS1_S3_PS1_EviT1_lT2_llT3_lli
	.p2align	8
	.type	_ZL22rocblas_saxpy_2_kernelILi256E19rocblas_complex_numIdEPKS1_S3_PS1_EviT1_lT2_llT3_lli,@function
_ZL22rocblas_saxpy_2_kernelILi256E19rocblas_complex_numIdEPKS1_S3_PS1_EviT1_lT2_llT3_lli: ; @_ZL22rocblas_saxpy_2_kernelILi256E19rocblas_complex_numIdEPKS1_S3_PS1_EviT1_lT2_llT3_lli
; %bb.0:
	s_load_b128 s[4:7], s[0:1], 0x8
	s_waitcnt lgkmcnt(0)
	s_mul_i32 s3, s15, s7
	s_mul_hi_u32 s7, s15, s6
	s_mul_i32 s2, s15, s6
	s_add_i32 s3, s7, s3
	s_delay_alu instid0(SALU_CYCLE_1) | instskip(NEXT) | instid1(SALU_CYCLE_1)
	s_lshl_b64 s[2:3], s[2:3], 4
	s_add_u32 s2, s4, s2
	s_addc_u32 s3, s5, s3
	s_load_b128 s[4:7], s[2:3], 0x0
	s_waitcnt lgkmcnt(0)
	v_cmp_neq_f64_e64 s2, s[4:5], 0
	v_cmp_neq_f64_e64 s3, s[6:7], 0
	s_delay_alu instid0(VALU_DEP_1) | instskip(NEXT) | instid1(SALU_CYCLE_1)
	s_or_b32 s2, s2, s3
	s_and_not1_b32 vcc_lo, exec_lo, s2
	s_cbranch_vccnz .LBB52_5
; %bb.1:
	s_clause 0x4
	s_load_b128 s[8:11], s[0:1], 0x20
	s_load_b128 s[16:19], s[0:1], 0x38
	s_load_b64 s[12:13], s[0:1], 0x18
	s_load_b64 s[20:21], s[0:1], 0x30
	s_load_b32 s2, s[0:1], 0x0
	v_dual_mov_b32 v3, 0 :: v_dual_lshlrev_b32 v0, 1, v0
	s_delay_alu instid0(VALU_DEP_1) | instskip(NEXT) | instid1(VALU_DEP_1)
	v_lshl_or_b32 v2, s14, 9, v0
	v_lshlrev_b64 v[0:1], 4, v[2:3]
	s_waitcnt lgkmcnt(0)
	s_mul_i32 s1, s15, s11
	s_mul_hi_u32 s3, s15, s10
	s_mul_i32 s0, s15, s10
	s_add_i32 s1, s3, s1
	s_mul_i32 s11, s15, s19
	s_lshl_b64 s[0:1], s[0:1], 4
	s_mul_hi_u32 s19, s15, s18
	s_add_u32 s3, s12, s0
	s_addc_u32 s12, s13, s1
	s_lshl_b64 s[0:1], s[8:9], 4
	s_mul_i32 s10, s15, s18
	s_add_u32 s3, s3, s0
	s_addc_u32 s8, s12, s1
	s_add_i32 s11, s19, s11
	s_delay_alu instid0(SALU_CYCLE_1) | instskip(SKIP_4) | instid1(SALU_CYCLE_1)
	s_lshl_b64 s[0:1], s[10:11], 4
	s_mov_b32 s11, exec_lo
	s_add_u32 s9, s20, s0
	s_addc_u32 s10, s21, s1
	s_lshl_b64 s[0:1], s[16:17], 4
	s_add_u32 s9, s9, s0
	s_addc_u32 s10, s10, s1
	s_add_i32 s0, s2, -1
	s_delay_alu instid0(SALU_CYCLE_1) | instskip(NEXT) | instid1(SALU_CYCLE_1)
	s_ashr_i32 s1, s0, 31
	v_cmpx_gt_i64_e64 s[0:1], v[2:3]
	s_cbranch_execz .LBB52_3
; %bb.2:
	v_add_co_u32 v8, vcc_lo, s3, v0
	v_add_co_ci_u32_e32 v9, vcc_lo, s8, v1, vcc_lo
	v_add_co_u32 v20, vcc_lo, s9, v0
	v_add_co_ci_u32_e32 v21, vcc_lo, s10, v1, vcc_lo
	s_clause 0x1
	global_load_b128 v[4:7], v[8:9], off
	global_load_b128 v[8:11], v[8:9], off offset:16
	s_clause 0x1
	global_load_b128 v[12:15], v[20:21], off
	global_load_b128 v[16:19], v[20:21], off offset:16
	s_waitcnt vmcnt(3)
	v_mul_f64 v[22:23], s[6:7], v[6:7]
	v_mul_f64 v[6:7], s[4:5], v[6:7]
	s_waitcnt vmcnt(2)
	v_mul_f64 v[24:25], s[6:7], v[10:11]
	v_mul_f64 v[10:11], s[4:5], v[10:11]
	s_delay_alu instid0(VALU_DEP_4) | instskip(NEXT) | instid1(VALU_DEP_4)
	v_fma_f64 v[22:23], s[4:5], v[4:5], -v[22:23]
	v_fma_f64 v[6:7], s[6:7], v[4:5], v[6:7]
	s_delay_alu instid0(VALU_DEP_4) | instskip(NEXT) | instid1(VALU_DEP_4)
	v_fma_f64 v[24:25], s[4:5], v[8:9], -v[24:25]
	v_fma_f64 v[10:11], s[6:7], v[8:9], v[10:11]
	s_waitcnt vmcnt(1)
	s_delay_alu instid0(VALU_DEP_4) | instskip(NEXT) | instid1(VALU_DEP_4)
	v_add_f64 v[4:5], v[12:13], v[22:23]
	v_add_f64 v[6:7], v[14:15], v[6:7]
	s_waitcnt vmcnt(0)
	s_delay_alu instid0(VALU_DEP_4) | instskip(NEXT) | instid1(VALU_DEP_4)
	v_add_f64 v[8:9], v[16:17], v[24:25]
	v_add_f64 v[10:11], v[18:19], v[10:11]
	s_clause 0x1
	global_store_b128 v[20:21], v[4:7], off
	global_store_b128 v[20:21], v[8:11], off offset:16
.LBB52_3:
	s_or_b32 exec_lo, exec_lo, s11
	v_cmp_eq_u64_e32 vcc_lo, s[0:1], v[2:3]
	s_bitcmp1_b32 s2, 0
	s_cselect_b32 s0, -1, 0
	s_delay_alu instid0(SALU_CYCLE_1) | instskip(NEXT) | instid1(SALU_CYCLE_1)
	s_and_b32 s0, s0, vcc_lo
	s_and_saveexec_b32 s1, s0
	s_cbranch_execz .LBB52_5
; %bb.4:
	v_add_co_u32 v2, vcc_lo, s3, v0
	v_add_co_ci_u32_e32 v3, vcc_lo, s8, v1, vcc_lo
	v_add_co_u32 v10, vcc_lo, s9, v0
	v_add_co_ci_u32_e32 v11, vcc_lo, s10, v1, vcc_lo
	global_load_b128 v[2:5], v[2:3], off
	global_load_b128 v[6:9], v[10:11], off
	s_waitcnt vmcnt(1)
	v_mul_f64 v[0:1], s[6:7], v[4:5]
	v_mul_f64 v[4:5], s[4:5], v[4:5]
	s_delay_alu instid0(VALU_DEP_2) | instskip(NEXT) | instid1(VALU_DEP_2)
	v_fma_f64 v[0:1], s[4:5], v[2:3], -v[0:1]
	v_fma_f64 v[2:3], s[6:7], v[2:3], v[4:5]
	s_waitcnt vmcnt(0)
	s_delay_alu instid0(VALU_DEP_2) | instskip(NEXT) | instid1(VALU_DEP_2)
	v_add_f64 v[0:1], v[6:7], v[0:1]
	v_add_f64 v[2:3], v[8:9], v[2:3]
	global_store_b128 v[10:11], v[0:3], off
.LBB52_5:
	s_nop 0
	s_sendmsg sendmsg(MSG_DEALLOC_VGPRS)
	s_endpgm
	.section	.rodata,"a",@progbits
	.p2align	6, 0x0
	.amdhsa_kernel _ZL22rocblas_saxpy_2_kernelILi256E19rocblas_complex_numIdEPKS1_S3_PS1_EviT1_lT2_llT3_lli
		.amdhsa_group_segment_fixed_size 0
		.amdhsa_private_segment_fixed_size 0
		.amdhsa_kernarg_size 76
		.amdhsa_user_sgpr_count 14
		.amdhsa_user_sgpr_dispatch_ptr 0
		.amdhsa_user_sgpr_queue_ptr 0
		.amdhsa_user_sgpr_kernarg_segment_ptr 1
		.amdhsa_user_sgpr_dispatch_id 0
		.amdhsa_user_sgpr_private_segment_size 0
		.amdhsa_wavefront_size32 1
		.amdhsa_uses_dynamic_stack 0
		.amdhsa_enable_private_segment 0
		.amdhsa_system_sgpr_workgroup_id_x 1
		.amdhsa_system_sgpr_workgroup_id_y 0
		.amdhsa_system_sgpr_workgroup_id_z 1
		.amdhsa_system_sgpr_workgroup_info 0
		.amdhsa_system_vgpr_workitem_id 0
		.amdhsa_next_free_vgpr 26
		.amdhsa_next_free_sgpr 22
		.amdhsa_reserve_vcc 1
		.amdhsa_float_round_mode_32 0
		.amdhsa_float_round_mode_16_64 0
		.amdhsa_float_denorm_mode_32 3
		.amdhsa_float_denorm_mode_16_64 3
		.amdhsa_dx10_clamp 1
		.amdhsa_ieee_mode 1
		.amdhsa_fp16_overflow 0
		.amdhsa_workgroup_processor_mode 1
		.amdhsa_memory_ordered 1
		.amdhsa_forward_progress 0
		.amdhsa_shared_vgpr_count 0
		.amdhsa_exception_fp_ieee_invalid_op 0
		.amdhsa_exception_fp_denorm_src 0
		.amdhsa_exception_fp_ieee_div_zero 0
		.amdhsa_exception_fp_ieee_overflow 0
		.amdhsa_exception_fp_ieee_underflow 0
		.amdhsa_exception_fp_ieee_inexact 0
		.amdhsa_exception_int_div_zero 0
	.end_amdhsa_kernel
	.section	.text._ZL22rocblas_saxpy_2_kernelILi256E19rocblas_complex_numIdEPKS1_S3_PS1_EviT1_lT2_llT3_lli,"axG",@progbits,_ZL22rocblas_saxpy_2_kernelILi256E19rocblas_complex_numIdEPKS1_S3_PS1_EviT1_lT2_llT3_lli,comdat
.Lfunc_end52:
	.size	_ZL22rocblas_saxpy_2_kernelILi256E19rocblas_complex_numIdEPKS1_S3_PS1_EviT1_lT2_llT3_lli, .Lfunc_end52-_ZL22rocblas_saxpy_2_kernelILi256E19rocblas_complex_numIdEPKS1_S3_PS1_EviT1_lT2_llT3_lli
                                        ; -- End function
	.section	.AMDGPU.csdata,"",@progbits
; Kernel info:
; codeLenInByte = 644
; NumSgprs: 24
; NumVgprs: 26
; ScratchSize: 0
; MemoryBound: 0
; FloatMode: 240
; IeeeMode: 1
; LDSByteSize: 0 bytes/workgroup (compile time only)
; SGPRBlocks: 2
; VGPRBlocks: 3
; NumSGPRsForWavesPerEU: 24
; NumVGPRsForWavesPerEU: 26
; Occupancy: 16
; WaveLimiterHint : 0
; COMPUTE_PGM_RSRC2:SCRATCH_EN: 0
; COMPUTE_PGM_RSRC2:USER_SGPR: 14
; COMPUTE_PGM_RSRC2:TRAP_HANDLER: 0
; COMPUTE_PGM_RSRC2:TGID_X_EN: 1
; COMPUTE_PGM_RSRC2:TGID_Y_EN: 0
; COMPUTE_PGM_RSRC2:TGID_Z_EN: 1
; COMPUTE_PGM_RSRC2:TIDIG_COMP_CNT: 0
	.section	.text._ZL22rocblas_saxpy_2_kernelILi256E19rocblas_complex_numIdES1_PKS1_PS1_EviT1_lT2_llT3_lli,"axG",@progbits,_ZL22rocblas_saxpy_2_kernelILi256E19rocblas_complex_numIdES1_PKS1_PS1_EviT1_lT2_llT3_lli,comdat
	.globl	_ZL22rocblas_saxpy_2_kernelILi256E19rocblas_complex_numIdES1_PKS1_PS1_EviT1_lT2_llT3_lli ; -- Begin function _ZL22rocblas_saxpy_2_kernelILi256E19rocblas_complex_numIdES1_PKS1_PS1_EviT1_lT2_llT3_lli
	.p2align	8
	.type	_ZL22rocblas_saxpy_2_kernelILi256E19rocblas_complex_numIdES1_PKS1_PS1_EviT1_lT2_llT3_lli,@function
_ZL22rocblas_saxpy_2_kernelILi256E19rocblas_complex_numIdES1_PKS1_PS1_EviT1_lT2_llT3_lli: ; @_ZL22rocblas_saxpy_2_kernelILi256E19rocblas_complex_numIdES1_PKS1_PS1_EviT1_lT2_llT3_lli
; %bb.0:
	s_load_b128 s[4:7], s[0:1], 0x8
	s_waitcnt lgkmcnt(0)
	v_cmp_neq_f64_e64 s2, s[4:5], 0
	v_cmp_neq_f64_e64 s3, s[6:7], 0
	s_delay_alu instid0(VALU_DEP_1) | instskip(NEXT) | instid1(SALU_CYCLE_1)
	s_or_b32 s2, s2, s3
	s_and_not1_b32 vcc_lo, exec_lo, s2
	s_cbranch_vccnz .LBB53_5
; %bb.1:
	s_clause 0x4
	s_load_b128 s[8:11], s[0:1], 0x28
	s_load_b128 s[16:19], s[0:1], 0x40
	s_load_b64 s[12:13], s[0:1], 0x20
	s_load_b64 s[20:21], s[0:1], 0x38
	s_load_b32 s2, s[0:1], 0x0
	v_dual_mov_b32 v3, 0 :: v_dual_lshlrev_b32 v0, 1, v0
	s_delay_alu instid0(VALU_DEP_1) | instskip(NEXT) | instid1(VALU_DEP_1)
	v_lshl_or_b32 v2, s14, 9, v0
	v_lshlrev_b64 v[0:1], 4, v[2:3]
	s_waitcnt lgkmcnt(0)
	s_mul_i32 s1, s15, s11
	s_mul_hi_u32 s3, s15, s10
	s_mul_i32 s0, s15, s10
	s_add_i32 s1, s3, s1
	s_mul_i32 s11, s15, s19
	s_lshl_b64 s[0:1], s[0:1], 4
	s_mul_hi_u32 s19, s15, s18
	s_add_u32 s3, s12, s0
	s_addc_u32 s12, s13, s1
	s_lshl_b64 s[0:1], s[8:9], 4
	s_mul_i32 s10, s15, s18
	s_add_u32 s3, s3, s0
	s_addc_u32 s8, s12, s1
	s_add_i32 s11, s19, s11
	s_delay_alu instid0(SALU_CYCLE_1) | instskip(SKIP_4) | instid1(SALU_CYCLE_1)
	s_lshl_b64 s[0:1], s[10:11], 4
	s_mov_b32 s11, exec_lo
	s_add_u32 s9, s20, s0
	s_addc_u32 s10, s21, s1
	s_lshl_b64 s[0:1], s[16:17], 4
	s_add_u32 s9, s9, s0
	s_addc_u32 s10, s10, s1
	s_add_i32 s0, s2, -1
	s_delay_alu instid0(SALU_CYCLE_1) | instskip(NEXT) | instid1(SALU_CYCLE_1)
	s_ashr_i32 s1, s0, 31
	v_cmpx_gt_i64_e64 s[0:1], v[2:3]
	s_cbranch_execz .LBB53_3
; %bb.2:
	v_add_co_u32 v8, vcc_lo, s3, v0
	v_add_co_ci_u32_e32 v9, vcc_lo, s8, v1, vcc_lo
	v_add_co_u32 v20, vcc_lo, s9, v0
	v_add_co_ci_u32_e32 v21, vcc_lo, s10, v1, vcc_lo
	s_clause 0x1
	global_load_b128 v[4:7], v[8:9], off
	global_load_b128 v[8:11], v[8:9], off offset:16
	s_clause 0x1
	global_load_b128 v[12:15], v[20:21], off
	global_load_b128 v[16:19], v[20:21], off offset:16
	s_waitcnt vmcnt(3)
	v_mul_f64 v[22:23], s[6:7], v[6:7]
	v_mul_f64 v[6:7], s[4:5], v[6:7]
	s_waitcnt vmcnt(2)
	v_mul_f64 v[24:25], s[6:7], v[10:11]
	v_mul_f64 v[10:11], s[4:5], v[10:11]
	s_delay_alu instid0(VALU_DEP_4) | instskip(NEXT) | instid1(VALU_DEP_4)
	v_fma_f64 v[22:23], s[4:5], v[4:5], -v[22:23]
	v_fma_f64 v[6:7], s[6:7], v[4:5], v[6:7]
	s_delay_alu instid0(VALU_DEP_4) | instskip(NEXT) | instid1(VALU_DEP_4)
	v_fma_f64 v[24:25], s[4:5], v[8:9], -v[24:25]
	v_fma_f64 v[10:11], s[6:7], v[8:9], v[10:11]
	s_waitcnt vmcnt(1)
	s_delay_alu instid0(VALU_DEP_4) | instskip(NEXT) | instid1(VALU_DEP_4)
	v_add_f64 v[4:5], v[12:13], v[22:23]
	v_add_f64 v[6:7], v[14:15], v[6:7]
	s_waitcnt vmcnt(0)
	s_delay_alu instid0(VALU_DEP_4) | instskip(NEXT) | instid1(VALU_DEP_4)
	v_add_f64 v[8:9], v[16:17], v[24:25]
	v_add_f64 v[10:11], v[18:19], v[10:11]
	s_clause 0x1
	global_store_b128 v[20:21], v[4:7], off
	global_store_b128 v[20:21], v[8:11], off offset:16
.LBB53_3:
	s_or_b32 exec_lo, exec_lo, s11
	v_cmp_eq_u64_e32 vcc_lo, s[0:1], v[2:3]
	s_bitcmp1_b32 s2, 0
	s_cselect_b32 s0, -1, 0
	s_delay_alu instid0(SALU_CYCLE_1) | instskip(NEXT) | instid1(SALU_CYCLE_1)
	s_and_b32 s0, s0, vcc_lo
	s_and_saveexec_b32 s1, s0
	s_cbranch_execz .LBB53_5
; %bb.4:
	v_add_co_u32 v2, vcc_lo, s3, v0
	v_add_co_ci_u32_e32 v3, vcc_lo, s8, v1, vcc_lo
	v_add_co_u32 v10, vcc_lo, s9, v0
	v_add_co_ci_u32_e32 v11, vcc_lo, s10, v1, vcc_lo
	global_load_b128 v[2:5], v[2:3], off
	global_load_b128 v[6:9], v[10:11], off
	s_waitcnt vmcnt(1)
	v_mul_f64 v[0:1], s[6:7], v[4:5]
	v_mul_f64 v[4:5], s[4:5], v[4:5]
	s_delay_alu instid0(VALU_DEP_2) | instskip(NEXT) | instid1(VALU_DEP_2)
	v_fma_f64 v[0:1], s[4:5], v[2:3], -v[0:1]
	v_fma_f64 v[2:3], s[6:7], v[2:3], v[4:5]
	s_waitcnt vmcnt(0)
	s_delay_alu instid0(VALU_DEP_2) | instskip(NEXT) | instid1(VALU_DEP_2)
	v_add_f64 v[0:1], v[6:7], v[0:1]
	v_add_f64 v[2:3], v[8:9], v[2:3]
	global_store_b128 v[10:11], v[0:3], off
.LBB53_5:
	s_nop 0
	s_sendmsg sendmsg(MSG_DEALLOC_VGPRS)
	s_endpgm
	.section	.rodata,"a",@progbits
	.p2align	6, 0x0
	.amdhsa_kernel _ZL22rocblas_saxpy_2_kernelILi256E19rocblas_complex_numIdES1_PKS1_PS1_EviT1_lT2_llT3_lli
		.amdhsa_group_segment_fixed_size 0
		.amdhsa_private_segment_fixed_size 0
		.amdhsa_kernarg_size 84
		.amdhsa_user_sgpr_count 14
		.amdhsa_user_sgpr_dispatch_ptr 0
		.amdhsa_user_sgpr_queue_ptr 0
		.amdhsa_user_sgpr_kernarg_segment_ptr 1
		.amdhsa_user_sgpr_dispatch_id 0
		.amdhsa_user_sgpr_private_segment_size 0
		.amdhsa_wavefront_size32 1
		.amdhsa_uses_dynamic_stack 0
		.amdhsa_enable_private_segment 0
		.amdhsa_system_sgpr_workgroup_id_x 1
		.amdhsa_system_sgpr_workgroup_id_y 0
		.amdhsa_system_sgpr_workgroup_id_z 1
		.amdhsa_system_sgpr_workgroup_info 0
		.amdhsa_system_vgpr_workitem_id 0
		.amdhsa_next_free_vgpr 26
		.amdhsa_next_free_sgpr 22
		.amdhsa_reserve_vcc 1
		.amdhsa_float_round_mode_32 0
		.amdhsa_float_round_mode_16_64 0
		.amdhsa_float_denorm_mode_32 3
		.amdhsa_float_denorm_mode_16_64 3
		.amdhsa_dx10_clamp 1
		.amdhsa_ieee_mode 1
		.amdhsa_fp16_overflow 0
		.amdhsa_workgroup_processor_mode 1
		.amdhsa_memory_ordered 1
		.amdhsa_forward_progress 0
		.amdhsa_shared_vgpr_count 0
		.amdhsa_exception_fp_ieee_invalid_op 0
		.amdhsa_exception_fp_denorm_src 0
		.amdhsa_exception_fp_ieee_div_zero 0
		.amdhsa_exception_fp_ieee_overflow 0
		.amdhsa_exception_fp_ieee_underflow 0
		.amdhsa_exception_fp_ieee_inexact 0
		.amdhsa_exception_int_div_zero 0
	.end_amdhsa_kernel
	.section	.text._ZL22rocblas_saxpy_2_kernelILi256E19rocblas_complex_numIdES1_PKS1_PS1_EviT1_lT2_llT3_lli,"axG",@progbits,_ZL22rocblas_saxpy_2_kernelILi256E19rocblas_complex_numIdES1_PKS1_PS1_EviT1_lT2_llT3_lli,comdat
.Lfunc_end53:
	.size	_ZL22rocblas_saxpy_2_kernelILi256E19rocblas_complex_numIdES1_PKS1_PS1_EviT1_lT2_llT3_lli, .Lfunc_end53-_ZL22rocblas_saxpy_2_kernelILi256E19rocblas_complex_numIdES1_PKS1_PS1_EviT1_lT2_llT3_lli
                                        ; -- End function
	.section	.AMDGPU.csdata,"",@progbits
; Kernel info:
; codeLenInByte = 600
; NumSgprs: 24
; NumVgprs: 26
; ScratchSize: 0
; MemoryBound: 0
; FloatMode: 240
; IeeeMode: 1
; LDSByteSize: 0 bytes/workgroup (compile time only)
; SGPRBlocks: 2
; VGPRBlocks: 3
; NumSGPRsForWavesPerEU: 24
; NumVGPRsForWavesPerEU: 26
; Occupancy: 16
; WaveLimiterHint : 0
; COMPUTE_PGM_RSRC2:SCRATCH_EN: 0
; COMPUTE_PGM_RSRC2:USER_SGPR: 14
; COMPUTE_PGM_RSRC2:TRAP_HANDLER: 0
; COMPUTE_PGM_RSRC2:TGID_X_EN: 1
; COMPUTE_PGM_RSRC2:TGID_Y_EN: 0
; COMPUTE_PGM_RSRC2:TGID_Z_EN: 1
; COMPUTE_PGM_RSRC2:TIDIG_COMP_CNT: 0
	.section	.text._ZL27rocblas_axpy_kernel_batchedIiLi128ELi8E19rocblas_complex_numIdEPKS1_S3_PS1_EviT3_lT4_lT_lT5_lS7_li,"axG",@progbits,_ZL27rocblas_axpy_kernel_batchedIiLi128ELi8E19rocblas_complex_numIdEPKS1_S3_PS1_EviT3_lT4_lT_lT5_lS7_li,comdat
	.globl	_ZL27rocblas_axpy_kernel_batchedIiLi128ELi8E19rocblas_complex_numIdEPKS1_S3_PS1_EviT3_lT4_lT_lT5_lS7_li ; -- Begin function _ZL27rocblas_axpy_kernel_batchedIiLi128ELi8E19rocblas_complex_numIdEPKS1_S3_PS1_EviT3_lT4_lT_lT5_lS7_li
	.p2align	8
	.type	_ZL27rocblas_axpy_kernel_batchedIiLi128ELi8E19rocblas_complex_numIdEPKS1_S3_PS1_EviT3_lT4_lT_lT5_lS7_li,@function
_ZL27rocblas_axpy_kernel_batchedIiLi128ELi8E19rocblas_complex_numIdEPKS1_S3_PS1_EviT3_lT4_lT_lT5_lS7_li: ; @_ZL27rocblas_axpy_kernel_batchedIiLi128ELi8E19rocblas_complex_numIdEPKS1_S3_PS1_EviT3_lT4_lT_lT5_lS7_li
; %bb.0:
	s_load_b32 s2, s[0:1], 0x0
	v_dual_mov_b32 v2, 0 :: v_dual_and_b32 v1, 0x3ff, v0
	s_delay_alu instid0(VALU_DEP_1)
	v_lshl_add_u32 v1, s14, 7, v1
	s_waitcnt lgkmcnt(0)
	s_ashr_i32 s3, s2, 31
	s_delay_alu instid0(VALU_DEP_1) | instid1(SALU_CYCLE_1)
	v_cmp_gt_i64_e32 vcc_lo, s[2:3], v[1:2]
	s_and_saveexec_b32 s2, vcc_lo
	s_cbranch_execz .LBB54_13
; %bb.1:
	s_clause 0x6
	s_load_b32 s13, s[0:1], 0x28
	s_load_b32 s14, s[0:1], 0x48
	s_load_b256 s[4:11], s[0:1], 0x8
	s_load_b128 s[16:19], s[0:1], 0x30
	s_load_b64 s[2:3], s[0:1], 0x50
	s_load_b32 s12, s[0:1], 0x58
	s_load_b64 s[0:1], s[0:1], 0x40
	v_bfe_u32 v0, v0, 10, 10
	s_waitcnt lgkmcnt(0)
	v_mad_u64_u32 v[2:3], null, s13, v1, 0
	v_mad_u64_u32 v[4:5], null, s14, v1, 0
	s_ashr_i32 s13, s13, 31
	s_lshl_b64 s[10:11], s[10:11], 4
	s_delay_alu instid0(VALU_DEP_1) | instskip(SKIP_4) | instid1(SALU_CYCLE_1)
	v_mad_u64_u32 v[6:7], null, s13, v1, v[3:4]
	s_ashr_i32 s13, s14, 31
	s_add_u32 s8, s10, s8
	s_addc_u32 s9, s11, s9
	s_lshl_b64 s[0:1], s[0:1], 4
	s_add_u32 s0, s0, s18
	s_delay_alu instid0(VALU_DEP_1) | instskip(SKIP_2) | instid1(VALU_DEP_1)
	v_mad_u64_u32 v[7:8], null, s13, v1, v[5:6]
	v_dual_mov_b32 v3, v6 :: v_dual_lshlrev_b32 v8, 2, v0
	s_addc_u32 s1, s1, s19
	v_lshl_add_u32 v8, s15, 5, v8
	s_delay_alu instid0(VALU_DEP_3) | instskip(NEXT) | instid1(VALU_DEP_3)
	v_mov_b32_e32 v5, v7
	v_lshlrev_b64 v[0:1], 4, v[2:3]
	s_delay_alu instid0(VALU_DEP_2) | instskip(NEXT) | instid1(VALU_DEP_2)
	v_lshlrev_b64 v[2:3], 4, v[4:5]
	v_add_co_u32 v6, vcc_lo, s8, v0
	s_delay_alu instid0(VALU_DEP_3) | instskip(NEXT) | instid1(VALU_DEP_3)
	v_add_co_ci_u32_e32 v7, vcc_lo, s9, v1, vcc_lo
	v_add_co_u32 v4, vcc_lo, s0, v2
	s_delay_alu instid0(VALU_DEP_4)
	v_add_co_ci_u32_e32 v5, vcc_lo, s1, v3, vcc_lo
	s_mov_b32 s1, exec_lo
	v_cmpx_gt_u32_e64 s12, v8
	s_cbranch_execz .LBB54_4
; %bb.2:
	v_mad_u64_u32 v[0:1], null, v8, s6, 0
	s_delay_alu instid0(VALU_DEP_1) | instskip(NEXT) | instid1(VALU_DEP_1)
	v_mad_u64_u32 v[2:3], null, v8, s7, v[1:2]
	v_mov_b32_e32 v1, v2
	s_delay_alu instid0(VALU_DEP_1) | instskip(NEXT) | instid1(VALU_DEP_1)
	v_lshlrev_b64 v[0:1], 4, v[0:1]
	v_add_co_u32 v0, vcc_lo, s4, v0
	s_delay_alu instid0(VALU_DEP_2) | instskip(SKIP_4) | instid1(VALU_DEP_1)
	v_add_co_ci_u32_e32 v1, vcc_lo, s5, v1, vcc_lo
	global_load_b128 v[0:3], v[0:1], off
	s_waitcnt vmcnt(0)
	v_cmp_neq_f64_e32 vcc_lo, 0, v[0:1]
	v_cmp_neq_f64_e64 s0, 0, v[2:3]
	s_or_b32 s0, vcc_lo, s0
	s_delay_alu instid0(SALU_CYCLE_1)
	s_and_b32 exec_lo, exec_lo, s0
	s_cbranch_execz .LBB54_4
; %bb.3:
	v_mad_u64_u32 v[9:10], null, v8, s16, 0
	v_mad_u64_u32 v[13:14], null, v8, s2, 0
	s_delay_alu instid0(VALU_DEP_2) | instskip(NEXT) | instid1(VALU_DEP_2)
	v_mad_u64_u32 v[11:12], null, v8, s17, v[10:11]
	v_mad_u64_u32 v[15:16], null, v8, s3, v[14:15]
	s_delay_alu instid0(VALU_DEP_2) | instskip(NEXT) | instid1(VALU_DEP_2)
	v_mov_b32_e32 v10, v11
	v_mov_b32_e32 v14, v15
	s_delay_alu instid0(VALU_DEP_2) | instskip(NEXT) | instid1(VALU_DEP_2)
	v_lshlrev_b64 v[9:10], 4, v[9:10]
	v_lshlrev_b64 v[13:14], 4, v[13:14]
	s_delay_alu instid0(VALU_DEP_2) | instskip(NEXT) | instid1(VALU_DEP_3)
	v_add_co_u32 v9, vcc_lo, v6, v9
	v_add_co_ci_u32_e32 v10, vcc_lo, v7, v10, vcc_lo
	s_delay_alu instid0(VALU_DEP_3) | instskip(NEXT) | instid1(VALU_DEP_4)
	v_add_co_u32 v17, vcc_lo, v4, v13
	v_add_co_ci_u32_e32 v18, vcc_lo, v5, v14, vcc_lo
	global_load_b128 v[9:12], v[9:10], off
	global_load_b128 v[13:16], v[17:18], off
	s_waitcnt vmcnt(1)
	v_mul_f64 v[19:20], v[2:3], v[11:12]
	v_mul_f64 v[11:12], v[0:1], v[11:12]
	s_delay_alu instid0(VALU_DEP_2) | instskip(NEXT) | instid1(VALU_DEP_2)
	v_fma_f64 v[0:1], v[0:1], v[9:10], -v[19:20]
	v_fma_f64 v[2:3], v[2:3], v[9:10], v[11:12]
	s_waitcnt vmcnt(0)
	s_delay_alu instid0(VALU_DEP_2) | instskip(NEXT) | instid1(VALU_DEP_2)
	v_add_f64 v[0:1], v[13:14], v[0:1]
	v_add_f64 v[2:3], v[15:16], v[2:3]
	global_store_b128 v[17:18], v[0:3], off
.LBB54_4:
	s_or_b32 exec_lo, exec_lo, s1
	v_or_b32_e32 v9, 1, v8
	s_mov_b32 s1, exec_lo
	s_delay_alu instid0(VALU_DEP_1)
	v_cmpx_gt_u32_e64 s12, v9
	s_cbranch_execz .LBB54_7
; %bb.5:
	v_mad_u64_u32 v[0:1], null, v9, s6, 0
	s_delay_alu instid0(VALU_DEP_1) | instskip(NEXT) | instid1(VALU_DEP_1)
	v_mad_u64_u32 v[2:3], null, v9, s7, v[1:2]
	v_mov_b32_e32 v1, v2
	s_delay_alu instid0(VALU_DEP_1) | instskip(NEXT) | instid1(VALU_DEP_1)
	v_lshlrev_b64 v[0:1], 4, v[0:1]
	v_add_co_u32 v0, vcc_lo, s4, v0
	s_delay_alu instid0(VALU_DEP_2) | instskip(SKIP_4) | instid1(VALU_DEP_1)
	v_add_co_ci_u32_e32 v1, vcc_lo, s5, v1, vcc_lo
	global_load_b128 v[0:3], v[0:1], off
	s_waitcnt vmcnt(0)
	v_cmp_neq_f64_e32 vcc_lo, 0, v[0:1]
	v_cmp_neq_f64_e64 s0, 0, v[2:3]
	s_or_b32 s0, vcc_lo, s0
	s_delay_alu instid0(SALU_CYCLE_1)
	s_and_b32 exec_lo, exec_lo, s0
	s_cbranch_execz .LBB54_7
; %bb.6:
	v_mad_u64_u32 v[10:11], null, v9, s16, 0
	v_mad_u64_u32 v[14:15], null, v9, s2, 0
	s_delay_alu instid0(VALU_DEP_2) | instskip(NEXT) | instid1(VALU_DEP_2)
	v_mad_u64_u32 v[12:13], null, v9, s17, v[11:12]
	v_mad_u64_u32 v[16:17], null, v9, s3, v[15:16]
	s_delay_alu instid0(VALU_DEP_2) | instskip(NEXT) | instid1(VALU_DEP_2)
	v_mov_b32_e32 v11, v12
	v_mov_b32_e32 v15, v16
	s_delay_alu instid0(VALU_DEP_2) | instskip(NEXT) | instid1(VALU_DEP_2)
	v_lshlrev_b64 v[10:11], 4, v[10:11]
	v_lshlrev_b64 v[14:15], 4, v[14:15]
	s_delay_alu instid0(VALU_DEP_2) | instskip(NEXT) | instid1(VALU_DEP_3)
	v_add_co_u32 v10, vcc_lo, v6, v10
	v_add_co_ci_u32_e32 v11, vcc_lo, v7, v11, vcc_lo
	s_delay_alu instid0(VALU_DEP_3) | instskip(NEXT) | instid1(VALU_DEP_4)
	v_add_co_u32 v18, vcc_lo, v4, v14
	v_add_co_ci_u32_e32 v19, vcc_lo, v5, v15, vcc_lo
	global_load_b128 v[10:13], v[10:11], off
	global_load_b128 v[14:17], v[18:19], off
	s_waitcnt vmcnt(1)
	v_mul_f64 v[20:21], v[2:3], v[12:13]
	v_mul_f64 v[12:13], v[0:1], v[12:13]
	s_delay_alu instid0(VALU_DEP_2) | instskip(NEXT) | instid1(VALU_DEP_2)
	v_fma_f64 v[0:1], v[0:1], v[10:11], -v[20:21]
	v_fma_f64 v[2:3], v[2:3], v[10:11], v[12:13]
	s_waitcnt vmcnt(0)
	s_delay_alu instid0(VALU_DEP_2) | instskip(NEXT) | instid1(VALU_DEP_2)
	v_add_f64 v[0:1], v[14:15], v[0:1]
	v_add_f64 v[2:3], v[16:17], v[2:3]
	global_store_b128 v[18:19], v[0:3], off
.LBB54_7:
	s_or_b32 exec_lo, exec_lo, s1
	v_or_b32_e32 v9, 2, v8
	s_mov_b32 s1, exec_lo
	s_delay_alu instid0(VALU_DEP_1)
	v_cmpx_gt_u32_e64 s12, v9
	s_cbranch_execz .LBB54_10
; %bb.8:
	v_mad_u64_u32 v[0:1], null, v9, s6, 0
	s_delay_alu instid0(VALU_DEP_1) | instskip(NEXT) | instid1(VALU_DEP_1)
	v_mad_u64_u32 v[2:3], null, v9, s7, v[1:2]
	v_mov_b32_e32 v1, v2
	s_delay_alu instid0(VALU_DEP_1) | instskip(NEXT) | instid1(VALU_DEP_1)
	v_lshlrev_b64 v[0:1], 4, v[0:1]
	v_add_co_u32 v0, vcc_lo, s4, v0
	s_delay_alu instid0(VALU_DEP_2) | instskip(SKIP_4) | instid1(VALU_DEP_1)
	v_add_co_ci_u32_e32 v1, vcc_lo, s5, v1, vcc_lo
	global_load_b128 v[0:3], v[0:1], off
	s_waitcnt vmcnt(0)
	v_cmp_neq_f64_e32 vcc_lo, 0, v[0:1]
	v_cmp_neq_f64_e64 s0, 0, v[2:3]
	s_or_b32 s0, vcc_lo, s0
	s_delay_alu instid0(SALU_CYCLE_1)
	s_and_b32 exec_lo, exec_lo, s0
	s_cbranch_execz .LBB54_10
; %bb.9:
	v_mad_u64_u32 v[10:11], null, v9, s16, 0
	v_mad_u64_u32 v[14:15], null, v9, s2, 0
	s_delay_alu instid0(VALU_DEP_2) | instskip(NEXT) | instid1(VALU_DEP_2)
	v_mad_u64_u32 v[12:13], null, v9, s17, v[11:12]
	v_mad_u64_u32 v[16:17], null, v9, s3, v[15:16]
	s_delay_alu instid0(VALU_DEP_2) | instskip(NEXT) | instid1(VALU_DEP_2)
	v_mov_b32_e32 v11, v12
	v_mov_b32_e32 v15, v16
	s_delay_alu instid0(VALU_DEP_2) | instskip(NEXT) | instid1(VALU_DEP_2)
	v_lshlrev_b64 v[10:11], 4, v[10:11]
	v_lshlrev_b64 v[14:15], 4, v[14:15]
	s_delay_alu instid0(VALU_DEP_2) | instskip(NEXT) | instid1(VALU_DEP_3)
	v_add_co_u32 v10, vcc_lo, v6, v10
	v_add_co_ci_u32_e32 v11, vcc_lo, v7, v11, vcc_lo
	s_delay_alu instid0(VALU_DEP_3) | instskip(NEXT) | instid1(VALU_DEP_4)
	v_add_co_u32 v18, vcc_lo, v4, v14
	v_add_co_ci_u32_e32 v19, vcc_lo, v5, v15, vcc_lo
	global_load_b128 v[10:13], v[10:11], off
	global_load_b128 v[14:17], v[18:19], off
	s_waitcnt vmcnt(1)
	v_mul_f64 v[20:21], v[2:3], v[12:13]
	v_mul_f64 v[12:13], v[0:1], v[12:13]
	s_delay_alu instid0(VALU_DEP_2) | instskip(NEXT) | instid1(VALU_DEP_2)
	v_fma_f64 v[0:1], v[0:1], v[10:11], -v[20:21]
	v_fma_f64 v[2:3], v[2:3], v[10:11], v[12:13]
	s_waitcnt vmcnt(0)
	s_delay_alu instid0(VALU_DEP_2) | instskip(NEXT) | instid1(VALU_DEP_2)
	v_add_f64 v[0:1], v[14:15], v[0:1]
	v_add_f64 v[2:3], v[16:17], v[2:3]
	global_store_b128 v[18:19], v[0:3], off
.LBB54_10:
	s_or_b32 exec_lo, exec_lo, s1
	v_or_b32_e32 v8, 3, v8
	s_delay_alu instid0(VALU_DEP_1)
	v_cmp_gt_u32_e32 vcc_lo, s12, v8
	s_and_b32 exec_lo, exec_lo, vcc_lo
	s_cbranch_execz .LBB54_13
; %bb.11:
	v_mad_u64_u32 v[0:1], null, v8, s6, 0
	s_delay_alu instid0(VALU_DEP_1) | instskip(NEXT) | instid1(VALU_DEP_1)
	v_mad_u64_u32 v[2:3], null, v8, s7, v[1:2]
	v_mov_b32_e32 v1, v2
	s_delay_alu instid0(VALU_DEP_1) | instskip(NEXT) | instid1(VALU_DEP_1)
	v_lshlrev_b64 v[0:1], 4, v[0:1]
	v_add_co_u32 v0, vcc_lo, s4, v0
	s_delay_alu instid0(VALU_DEP_2) | instskip(SKIP_4) | instid1(VALU_DEP_1)
	v_add_co_ci_u32_e32 v1, vcc_lo, s5, v1, vcc_lo
	global_load_b128 v[0:3], v[0:1], off
	s_waitcnt vmcnt(0)
	v_cmp_neq_f64_e32 vcc_lo, 0, v[0:1]
	v_cmp_neq_f64_e64 s0, 0, v[2:3]
	s_or_b32 s0, vcc_lo, s0
	s_delay_alu instid0(SALU_CYCLE_1)
	s_and_b32 exec_lo, exec_lo, s0
	s_cbranch_execz .LBB54_13
; %bb.12:
	v_mad_u64_u32 v[9:10], null, v8, s16, 0
	s_delay_alu instid0(VALU_DEP_1) | instskip(NEXT) | instid1(VALU_DEP_1)
	v_mad_u64_u32 v[11:12], null, v8, s17, v[10:11]
	v_mov_b32_e32 v10, v11
	s_delay_alu instid0(VALU_DEP_1) | instskip(NEXT) | instid1(VALU_DEP_1)
	v_lshlrev_b64 v[9:10], 4, v[9:10]
	v_add_co_u32 v6, vcc_lo, v6, v9
	s_delay_alu instid0(VALU_DEP_2) | instskip(SKIP_2) | instid1(VALU_DEP_1)
	v_add_co_ci_u32_e32 v7, vcc_lo, v7, v10, vcc_lo
	global_load_b128 v[9:12], v[6:7], off
	v_mad_u64_u32 v[6:7], null, v8, s2, 0
	v_mad_u64_u32 v[13:14], null, v8, s3, v[7:8]
	s_delay_alu instid0(VALU_DEP_1) | instskip(NEXT) | instid1(VALU_DEP_1)
	v_mov_b32_e32 v7, v13
	v_lshlrev_b64 v[6:7], 4, v[6:7]
	s_delay_alu instid0(VALU_DEP_1) | instskip(NEXT) | instid1(VALU_DEP_2)
	v_add_co_u32 v13, vcc_lo, v4, v6
	v_add_co_ci_u32_e32 v14, vcc_lo, v5, v7, vcc_lo
	global_load_b128 v[4:7], v[13:14], off
	s_waitcnt vmcnt(1)
	v_mul_f64 v[15:16], v[2:3], v[11:12]
	v_mul_f64 v[11:12], v[0:1], v[11:12]
	s_delay_alu instid0(VALU_DEP_2) | instskip(NEXT) | instid1(VALU_DEP_2)
	v_fma_f64 v[0:1], v[0:1], v[9:10], -v[15:16]
	v_fma_f64 v[2:3], v[2:3], v[9:10], v[11:12]
	s_waitcnt vmcnt(0)
	s_delay_alu instid0(VALU_DEP_2) | instskip(NEXT) | instid1(VALU_DEP_2)
	v_add_f64 v[0:1], v[4:5], v[0:1]
	v_add_f64 v[2:3], v[6:7], v[2:3]
	global_store_b128 v[13:14], v[0:3], off
.LBB54_13:
	s_nop 0
	s_sendmsg sendmsg(MSG_DEALLOC_VGPRS)
	s_endpgm
	.section	.rodata,"a",@progbits
	.p2align	6, 0x0
	.amdhsa_kernel _ZL27rocblas_axpy_kernel_batchedIiLi128ELi8E19rocblas_complex_numIdEPKS1_S3_PS1_EviT3_lT4_lT_lT5_lS7_li
		.amdhsa_group_segment_fixed_size 0
		.amdhsa_private_segment_fixed_size 0
		.amdhsa_kernarg_size 92
		.amdhsa_user_sgpr_count 14
		.amdhsa_user_sgpr_dispatch_ptr 0
		.amdhsa_user_sgpr_queue_ptr 0
		.amdhsa_user_sgpr_kernarg_segment_ptr 1
		.amdhsa_user_sgpr_dispatch_id 0
		.amdhsa_user_sgpr_private_segment_size 0
		.amdhsa_wavefront_size32 1
		.amdhsa_uses_dynamic_stack 0
		.amdhsa_enable_private_segment 0
		.amdhsa_system_sgpr_workgroup_id_x 1
		.amdhsa_system_sgpr_workgroup_id_y 0
		.amdhsa_system_sgpr_workgroup_id_z 1
		.amdhsa_system_sgpr_workgroup_info 0
		.amdhsa_system_vgpr_workitem_id 1
		.amdhsa_next_free_vgpr 22
		.amdhsa_next_free_sgpr 20
		.amdhsa_reserve_vcc 1
		.amdhsa_float_round_mode_32 0
		.amdhsa_float_round_mode_16_64 0
		.amdhsa_float_denorm_mode_32 3
		.amdhsa_float_denorm_mode_16_64 3
		.amdhsa_dx10_clamp 1
		.amdhsa_ieee_mode 1
		.amdhsa_fp16_overflow 0
		.amdhsa_workgroup_processor_mode 1
		.amdhsa_memory_ordered 1
		.amdhsa_forward_progress 0
		.amdhsa_shared_vgpr_count 0
		.amdhsa_exception_fp_ieee_invalid_op 0
		.amdhsa_exception_fp_denorm_src 0
		.amdhsa_exception_fp_ieee_div_zero 0
		.amdhsa_exception_fp_ieee_overflow 0
		.amdhsa_exception_fp_ieee_underflow 0
		.amdhsa_exception_fp_ieee_inexact 0
		.amdhsa_exception_int_div_zero 0
	.end_amdhsa_kernel
	.section	.text._ZL27rocblas_axpy_kernel_batchedIiLi128ELi8E19rocblas_complex_numIdEPKS1_S3_PS1_EviT3_lT4_lT_lT5_lS7_li,"axG",@progbits,_ZL27rocblas_axpy_kernel_batchedIiLi128ELi8E19rocblas_complex_numIdEPKS1_S3_PS1_EviT3_lT4_lT_lT5_lS7_li,comdat
.Lfunc_end54:
	.size	_ZL27rocblas_axpy_kernel_batchedIiLi128ELi8E19rocblas_complex_numIdEPKS1_S3_PS1_EviT3_lT4_lT_lT5_lS7_li, .Lfunc_end54-_ZL27rocblas_axpy_kernel_batchedIiLi128ELi8E19rocblas_complex_numIdEPKS1_S3_PS1_EviT3_lT4_lT_lT5_lS7_li
                                        ; -- End function
	.section	.AMDGPU.csdata,"",@progbits
; Kernel info:
; codeLenInByte = 1504
; NumSgprs: 22
; NumVgprs: 22
; ScratchSize: 0
; MemoryBound: 0
; FloatMode: 240
; IeeeMode: 1
; LDSByteSize: 0 bytes/workgroup (compile time only)
; SGPRBlocks: 2
; VGPRBlocks: 2
; NumSGPRsForWavesPerEU: 22
; NumVGPRsForWavesPerEU: 22
; Occupancy: 16
; WaveLimiterHint : 0
; COMPUTE_PGM_RSRC2:SCRATCH_EN: 0
; COMPUTE_PGM_RSRC2:USER_SGPR: 14
; COMPUTE_PGM_RSRC2:TRAP_HANDLER: 0
; COMPUTE_PGM_RSRC2:TGID_X_EN: 1
; COMPUTE_PGM_RSRC2:TGID_Y_EN: 0
; COMPUTE_PGM_RSRC2:TGID_Z_EN: 1
; COMPUTE_PGM_RSRC2:TIDIG_COMP_CNT: 1
	.section	.text._ZL27rocblas_axpy_kernel_batchedIiLi128ELi8E19rocblas_complex_numIdES1_PKS1_PS1_EviT3_lT4_lT_lT5_lS7_li,"axG",@progbits,_ZL27rocblas_axpy_kernel_batchedIiLi128ELi8E19rocblas_complex_numIdES1_PKS1_PS1_EviT3_lT4_lT_lT5_lS7_li,comdat
	.globl	_ZL27rocblas_axpy_kernel_batchedIiLi128ELi8E19rocblas_complex_numIdES1_PKS1_PS1_EviT3_lT4_lT_lT5_lS7_li ; -- Begin function _ZL27rocblas_axpy_kernel_batchedIiLi128ELi8E19rocblas_complex_numIdES1_PKS1_PS1_EviT3_lT4_lT_lT5_lS7_li
	.p2align	8
	.type	_ZL27rocblas_axpy_kernel_batchedIiLi128ELi8E19rocblas_complex_numIdES1_PKS1_PS1_EviT3_lT4_lT_lT5_lS7_li,@function
_ZL27rocblas_axpy_kernel_batchedIiLi128ELi8E19rocblas_complex_numIdES1_PKS1_PS1_EviT3_lT4_lT_lT5_lS7_li: ; @_ZL27rocblas_axpy_kernel_batchedIiLi128ELi8E19rocblas_complex_numIdES1_PKS1_PS1_EviT3_lT4_lT_lT5_lS7_li
; %bb.0:
	s_load_b32 s2, s[0:1], 0x0
	v_dual_mov_b32 v2, 0 :: v_dual_and_b32 v1, 0x3ff, v0
	s_delay_alu instid0(VALU_DEP_1)
	v_lshl_add_u32 v1, s14, 7, v1
	s_waitcnt lgkmcnt(0)
	s_ashr_i32 s3, s2, 31
	s_delay_alu instid0(VALU_DEP_1) | instid1(SALU_CYCLE_1)
	v_cmp_gt_i64_e32 vcc_lo, s[2:3], v[1:2]
	s_and_saveexec_b32 s2, vcc_lo
	s_cbranch_execz .LBB55_9
; %bb.1:
	s_clause 0x4
	s_load_b128 s[4:7], s[0:1], 0x8
	s_load_b32 s13, s[0:1], 0x30
	s_load_b32 s14, s[0:1], 0x50
	s_load_b128 s[16:19], s[0:1], 0x20
	s_load_b128 s[8:11], s[0:1], 0x38
	v_bfe_u32 v4, v0, 10, 10
	s_clause 0x2
	s_load_b64 s[2:3], s[0:1], 0x58
	s_load_b32 s12, s[0:1], 0x60
	s_load_b64 s[0:1], s[0:1], 0x48
	s_waitcnt lgkmcnt(0)
	v_cmp_eq_f64_e64 s20, s[4:5], 0
	v_cmp_eq_f64_e64 s21, s[6:7], 0
	v_mad_u64_u32 v[5:6], null, s14, v1, 0
	v_mad_u64_u32 v[2:3], null, s13, v1, 0
	s_ashr_i32 s13, s13, 31
	s_delay_alu instid0(VALU_DEP_2) | instskip(NEXT) | instid1(VALU_DEP_2)
	v_mov_b32_e32 v0, v6
	v_mad_u64_u32 v[6:7], null, s13, v1, v[3:4]
	v_lshlrev_b32_e32 v3, 2, v4
	s_ashr_i32 s13, s14, 31
	s_delay_alu instid0(VALU_DEP_3) | instid1(SALU_CYCLE_1)
	v_mad_u64_u32 v[7:8], null, s13, v1, v[0:1]
	s_delay_alu instid0(VALU_DEP_2) | instskip(NEXT) | instid1(VALU_DEP_4)
	v_lshl_add_u32 v4, s15, 5, v3
	v_mov_b32_e32 v3, v6
	s_lshl_b64 s[14:15], s[18:19], 4
	s_delay_alu instid0(SALU_CYCLE_1) | instskip(SKIP_1) | instid1(VALU_DEP_3)
	s_add_u32 s13, s14, s16
	s_addc_u32 s14, s15, s17
	v_mov_b32_e32 v6, v7
	v_lshlrev_b64 v[0:1], 4, v[2:3]
	s_lshl_b64 s[0:1], s[0:1], 4
	v_cmp_gt_u32_e32 vcc_lo, s12, v4
	s_add_u32 s10, s0, s10
	v_lshlrev_b64 v[5:6], 4, v[5:6]
	s_addc_u32 s1, s1, s11
	v_add_co_u32 v2, s0, s13, v0
	s_delay_alu instid0(VALU_DEP_1) | instskip(NEXT) | instid1(VALU_DEP_3)
	v_add_co_ci_u32_e64 v3, s0, s14, v1, s0
	v_add_co_u32 v0, s0, s10, v5
	s_delay_alu instid0(VALU_DEP_1) | instskip(SKIP_1) | instid1(SALU_CYCLE_1)
	v_add_co_ci_u32_e64 v1, s0, s1, v6, s0
	s_and_b32 s11, s20, s21
	s_xor_b32 s0, s11, -1
	s_delay_alu instid0(SALU_CYCLE_1) | instskip(NEXT) | instid1(SALU_CYCLE_1)
	s_and_b32 s10, vcc_lo, s0
	s_and_saveexec_b32 s1, s10
	s_cbranch_execz .LBB55_3
; %bb.2:
	v_mad_u64_u32 v[5:6], null, v4, s8, 0
	v_mad_u64_u32 v[9:10], null, v4, s2, 0
	s_delay_alu instid0(VALU_DEP_2) | instskip(NEXT) | instid1(VALU_DEP_2)
	v_mad_u64_u32 v[7:8], null, v4, s9, v[6:7]
	v_mad_u64_u32 v[11:12], null, v4, s3, v[10:11]
	s_delay_alu instid0(VALU_DEP_2) | instskip(NEXT) | instid1(VALU_DEP_2)
	v_mov_b32_e32 v6, v7
	v_mov_b32_e32 v10, v11
	s_delay_alu instid0(VALU_DEP_2) | instskip(NEXT) | instid1(VALU_DEP_2)
	v_lshlrev_b64 v[5:6], 4, v[5:6]
	v_lshlrev_b64 v[9:10], 4, v[9:10]
	s_delay_alu instid0(VALU_DEP_2) | instskip(NEXT) | instid1(VALU_DEP_3)
	v_add_co_u32 v5, vcc_lo, v2, v5
	v_add_co_ci_u32_e32 v6, vcc_lo, v3, v6, vcc_lo
	s_delay_alu instid0(VALU_DEP_3) | instskip(NEXT) | instid1(VALU_DEP_4)
	v_add_co_u32 v13, vcc_lo, v0, v9
	v_add_co_ci_u32_e32 v14, vcc_lo, v1, v10, vcc_lo
	global_load_b128 v[5:8], v[5:6], off
	global_load_b128 v[9:12], v[13:14], off
	s_waitcnt vmcnt(1)
	v_mul_f64 v[15:16], s[6:7], v[7:8]
	v_mul_f64 v[7:8], s[4:5], v[7:8]
	s_delay_alu instid0(VALU_DEP_2) | instskip(NEXT) | instid1(VALU_DEP_2)
	v_fma_f64 v[15:16], s[4:5], v[5:6], -v[15:16]
	v_fma_f64 v[7:8], s[6:7], v[5:6], v[7:8]
	s_waitcnt vmcnt(0)
	s_delay_alu instid0(VALU_DEP_2) | instskip(NEXT) | instid1(VALU_DEP_2)
	v_add_f64 v[5:6], v[9:10], v[15:16]
	v_add_f64 v[7:8], v[11:12], v[7:8]
	global_store_b128 v[13:14], v[5:8], off
.LBB55_3:
	s_or_b32 exec_lo, exec_lo, s1
	v_or_b32_e32 v5, 1, v4
	s_delay_alu instid0(VALU_DEP_1) | instskip(SKIP_1) | instid1(SALU_CYCLE_1)
	v_cmp_gt_u32_e32 vcc_lo, s12, v5
	s_and_b32 s10, vcc_lo, s0
	s_and_saveexec_b32 s1, s10
	s_cbranch_execz .LBB55_5
; %bb.4:
	v_mad_u64_u32 v[6:7], null, v5, s8, 0
	v_mad_u64_u32 v[10:11], null, v5, s2, 0
	s_delay_alu instid0(VALU_DEP_2) | instskip(NEXT) | instid1(VALU_DEP_2)
	v_mad_u64_u32 v[8:9], null, v5, s9, v[7:8]
	v_mad_u64_u32 v[12:13], null, v5, s3, v[11:12]
	s_delay_alu instid0(VALU_DEP_2) | instskip(NEXT) | instid1(VALU_DEP_2)
	v_mov_b32_e32 v7, v8
	v_mov_b32_e32 v11, v12
	s_delay_alu instid0(VALU_DEP_2) | instskip(NEXT) | instid1(VALU_DEP_2)
	v_lshlrev_b64 v[6:7], 4, v[6:7]
	v_lshlrev_b64 v[10:11], 4, v[10:11]
	s_delay_alu instid0(VALU_DEP_2) | instskip(NEXT) | instid1(VALU_DEP_3)
	v_add_co_u32 v6, vcc_lo, v2, v6
	v_add_co_ci_u32_e32 v7, vcc_lo, v3, v7, vcc_lo
	s_delay_alu instid0(VALU_DEP_3) | instskip(NEXT) | instid1(VALU_DEP_4)
	v_add_co_u32 v14, vcc_lo, v0, v10
	v_add_co_ci_u32_e32 v15, vcc_lo, v1, v11, vcc_lo
	global_load_b128 v[6:9], v[6:7], off
	global_load_b128 v[10:13], v[14:15], off
	s_waitcnt vmcnt(1)
	v_mul_f64 v[16:17], s[6:7], v[8:9]
	v_mul_f64 v[8:9], s[4:5], v[8:9]
	s_delay_alu instid0(VALU_DEP_2) | instskip(NEXT) | instid1(VALU_DEP_2)
	v_fma_f64 v[16:17], s[4:5], v[6:7], -v[16:17]
	v_fma_f64 v[7:8], s[6:7], v[6:7], v[8:9]
	s_waitcnt vmcnt(0)
	s_delay_alu instid0(VALU_DEP_2) | instskip(NEXT) | instid1(VALU_DEP_2)
	v_add_f64 v[5:6], v[10:11], v[16:17]
	v_add_f64 v[7:8], v[12:13], v[7:8]
	global_store_b128 v[14:15], v[5:8], off
.LBB55_5:
	s_or_b32 exec_lo, exec_lo, s1
	v_or_b32_e32 v5, 2, v4
	s_delay_alu instid0(VALU_DEP_1) | instskip(SKIP_1) | instid1(SALU_CYCLE_1)
	v_cmp_gt_u32_e32 vcc_lo, s12, v5
	;; [unrolled: 39-line block ×3, first 2 shown]
	s_and_b32 s0, vcc_lo, s0
	s_and_b32 exec_lo, exec_lo, s0
	s_cbranch_execz .LBB55_9
; %bb.8:
	v_mad_u64_u32 v[5:6], null, v4, s8, 0
	s_delay_alu instid0(VALU_DEP_1) | instskip(NEXT) | instid1(VALU_DEP_1)
	v_mad_u64_u32 v[7:8], null, v4, s9, v[6:7]
	v_mov_b32_e32 v6, v7
	s_delay_alu instid0(VALU_DEP_1) | instskip(NEXT) | instid1(VALU_DEP_1)
	v_lshlrev_b64 v[5:6], 4, v[5:6]
	v_add_co_u32 v2, vcc_lo, v2, v5
	s_delay_alu instid0(VALU_DEP_2) | instskip(SKIP_2) | instid1(VALU_DEP_1)
	v_add_co_ci_u32_e32 v3, vcc_lo, v3, v6, vcc_lo
	global_load_b128 v[5:8], v[2:3], off
	v_mad_u64_u32 v[2:3], null, v4, s2, 0
	v_mad_u64_u32 v[9:10], null, v4, s3, v[3:4]
	s_delay_alu instid0(VALU_DEP_1) | instskip(NEXT) | instid1(VALU_DEP_1)
	v_mov_b32_e32 v3, v9
	v_lshlrev_b64 v[2:3], 4, v[2:3]
	s_delay_alu instid0(VALU_DEP_1) | instskip(NEXT) | instid1(VALU_DEP_2)
	v_add_co_u32 v9, vcc_lo, v0, v2
	v_add_co_ci_u32_e32 v10, vcc_lo, v1, v3, vcc_lo
	global_load_b128 v[0:3], v[9:10], off
	s_waitcnt vmcnt(1)
	v_mul_f64 v[11:12], s[6:7], v[7:8]
	v_mul_f64 v[7:8], s[4:5], v[7:8]
	s_delay_alu instid0(VALU_DEP_2) | instskip(NEXT) | instid1(VALU_DEP_2)
	v_fma_f64 v[11:12], s[4:5], v[5:6], -v[11:12]
	v_fma_f64 v[4:5], s[6:7], v[5:6], v[7:8]
	s_waitcnt vmcnt(0)
	s_delay_alu instid0(VALU_DEP_2) | instskip(NEXT) | instid1(VALU_DEP_2)
	v_add_f64 v[0:1], v[0:1], v[11:12]
	v_add_f64 v[2:3], v[2:3], v[4:5]
	global_store_b128 v[9:10], v[0:3], off
.LBB55_9:
	s_nop 0
	s_sendmsg sendmsg(MSG_DEALLOC_VGPRS)
	s_endpgm
	.section	.rodata,"a",@progbits
	.p2align	6, 0x0
	.amdhsa_kernel _ZL27rocblas_axpy_kernel_batchedIiLi128ELi8E19rocblas_complex_numIdES1_PKS1_PS1_EviT3_lT4_lT_lT5_lS7_li
		.amdhsa_group_segment_fixed_size 0
		.amdhsa_private_segment_fixed_size 0
		.amdhsa_kernarg_size 100
		.amdhsa_user_sgpr_count 14
		.amdhsa_user_sgpr_dispatch_ptr 0
		.amdhsa_user_sgpr_queue_ptr 0
		.amdhsa_user_sgpr_kernarg_segment_ptr 1
		.amdhsa_user_sgpr_dispatch_id 0
		.amdhsa_user_sgpr_private_segment_size 0
		.amdhsa_wavefront_size32 1
		.amdhsa_uses_dynamic_stack 0
		.amdhsa_enable_private_segment 0
		.amdhsa_system_sgpr_workgroup_id_x 1
		.amdhsa_system_sgpr_workgroup_id_y 0
		.amdhsa_system_sgpr_workgroup_id_z 1
		.amdhsa_system_sgpr_workgroup_info 0
		.amdhsa_system_vgpr_workitem_id 1
		.amdhsa_next_free_vgpr 18
		.amdhsa_next_free_sgpr 22
		.amdhsa_reserve_vcc 1
		.amdhsa_float_round_mode_32 0
		.amdhsa_float_round_mode_16_64 0
		.amdhsa_float_denorm_mode_32 3
		.amdhsa_float_denorm_mode_16_64 3
		.amdhsa_dx10_clamp 1
		.amdhsa_ieee_mode 1
		.amdhsa_fp16_overflow 0
		.amdhsa_workgroup_processor_mode 1
		.amdhsa_memory_ordered 1
		.amdhsa_forward_progress 0
		.amdhsa_shared_vgpr_count 0
		.amdhsa_exception_fp_ieee_invalid_op 0
		.amdhsa_exception_fp_denorm_src 0
		.amdhsa_exception_fp_ieee_div_zero 0
		.amdhsa_exception_fp_ieee_overflow 0
		.amdhsa_exception_fp_ieee_underflow 0
		.amdhsa_exception_fp_ieee_inexact 0
		.amdhsa_exception_int_div_zero 0
	.end_amdhsa_kernel
	.section	.text._ZL27rocblas_axpy_kernel_batchedIiLi128ELi8E19rocblas_complex_numIdES1_PKS1_PS1_EviT3_lT4_lT_lT5_lS7_li,"axG",@progbits,_ZL27rocblas_axpy_kernel_batchedIiLi128ELi8E19rocblas_complex_numIdES1_PKS1_PS1_EviT3_lT4_lT_lT5_lS7_li,comdat
.Lfunc_end55:
	.size	_ZL27rocblas_axpy_kernel_batchedIiLi128ELi8E19rocblas_complex_numIdES1_PKS1_PS1_EviT3_lT4_lT_lT5_lS7_li, .Lfunc_end55-_ZL27rocblas_axpy_kernel_batchedIiLi128ELi8E19rocblas_complex_numIdES1_PKS1_PS1_EviT3_lT4_lT_lT5_lS7_li
                                        ; -- End function
	.section	.AMDGPU.csdata,"",@progbits
; Kernel info:
; codeLenInByte = 1192
; NumSgprs: 24
; NumVgprs: 18
; ScratchSize: 0
; MemoryBound: 0
; FloatMode: 240
; IeeeMode: 1
; LDSByteSize: 0 bytes/workgroup (compile time only)
; SGPRBlocks: 2
; VGPRBlocks: 2
; NumSGPRsForWavesPerEU: 24
; NumVGPRsForWavesPerEU: 18
; Occupancy: 16
; WaveLimiterHint : 1
; COMPUTE_PGM_RSRC2:SCRATCH_EN: 0
; COMPUTE_PGM_RSRC2:USER_SGPR: 14
; COMPUTE_PGM_RSRC2:TRAP_HANDLER: 0
; COMPUTE_PGM_RSRC2:TGID_X_EN: 1
; COMPUTE_PGM_RSRC2:TGID_Y_EN: 0
; COMPUTE_PGM_RSRC2:TGID_Z_EN: 1
; COMPUTE_PGM_RSRC2:TIDIG_COMP_CNT: 1
	.section	.text._ZL19rocblas_axpy_kernelIiLi256E19rocblas_complex_numIdEPKS1_S3_PS1_EviT2_lT3_lT_lT4_lS7_li,"axG",@progbits,_ZL19rocblas_axpy_kernelIiLi256E19rocblas_complex_numIdEPKS1_S3_PS1_EviT2_lT3_lT_lT4_lS7_li,comdat
	.globl	_ZL19rocblas_axpy_kernelIiLi256E19rocblas_complex_numIdEPKS1_S3_PS1_EviT2_lT3_lT_lT4_lS7_li ; -- Begin function _ZL19rocblas_axpy_kernelIiLi256E19rocblas_complex_numIdEPKS1_S3_PS1_EviT2_lT3_lT_lT4_lS7_li
	.p2align	8
	.type	_ZL19rocblas_axpy_kernelIiLi256E19rocblas_complex_numIdEPKS1_S3_PS1_EviT2_lT3_lT_lT4_lS7_li,@function
_ZL19rocblas_axpy_kernelIiLi256E19rocblas_complex_numIdEPKS1_S3_PS1_EviT2_lT3_lT_lT4_lS7_li: ; @_ZL19rocblas_axpy_kernelIiLi256E19rocblas_complex_numIdEPKS1_S3_PS1_EviT2_lT3_lT_lT4_lS7_li
; %bb.0:
	s_clause 0x1
	s_load_b128 s[4:7], s[0:1], 0x8
	s_load_b32 s2, s[0:1], 0x0
	v_lshl_or_b32 v0, s14, 8, v0
	v_mov_b32_e32 v1, 0
	s_waitcnt lgkmcnt(0)
	s_mul_i32 s3, s15, s7
	s_mul_hi_u32 s7, s15, s6
	s_mul_i32 s6, s15, s6
	s_add_i32 s7, s7, s3
	s_ashr_i32 s3, s2, 31
	s_lshl_b64 s[6:7], s[6:7], 4
	v_cmp_gt_i64_e32 vcc_lo, s[2:3], v[0:1]
	s_add_u32 s4, s4, s6
	s_addc_u32 s5, s5, s7
	s_load_b128 s[4:7], s[4:5], 0x0
	s_waitcnt lgkmcnt(0)
	v_cmp_neq_f64_e64 s8, s[4:5], 0
	v_cmp_neq_f64_e64 s9, s[6:7], 0
	s_delay_alu instid0(VALU_DEP_1) | instskip(NEXT) | instid1(SALU_CYCLE_1)
	s_or_b32 s2, s8, s9
	s_and_b32 s2, vcc_lo, s2
	s_delay_alu instid0(SALU_CYCLE_1)
	s_and_saveexec_b32 s3, s2
	s_cbranch_execz .LBB56_2
; %bb.1:
	s_clause 0x3
	s_load_b32 s2, s[0:1], 0x28
	s_load_b128 s[8:11], s[0:1], 0x30
	s_load_b32 s12, s[0:1], 0x48
	s_load_b128 s[16:19], s[0:1], 0x18
	s_waitcnt lgkmcnt(0)
	v_mad_u64_u32 v[1:2], null, s2, v0, 0
	s_ashr_i32 s2, s2, 31
	s_mul_i32 s9, s15, s9
	s_mul_hi_u32 s13, s15, s8
	s_mul_i32 s8, s15, s8
	s_add_i32 s9, s13, s9
	s_ashr_i32 s13, s12, 31
	s_delay_alu instid0(VALU_DEP_1)
	v_mad_u64_u32 v[3:4], null, s2, v0, v[2:3]
	s_lshl_b64 s[8:9], s[8:9], 4
	s_clause 0x1
	s_load_b64 s[2:3], s[0:1], 0x40
	s_load_b64 s[0:1], s[0:1], 0x50
	s_add_u32 s14, s16, s8
	s_addc_u32 s16, s17, s9
	s_lshl_b64 s[8:9], s[18:19], 4
	v_mad_u64_u32 v[5:6], null, s12, v0, 0
	v_mov_b32_e32 v2, v3
	s_add_u32 s8, s8, s14
	s_addc_u32 s9, s9, s16
	s_delay_alu instid0(VALU_DEP_1) | instskip(NEXT) | instid1(VALU_DEP_3)
	v_lshlrev_b64 v[1:2], 4, v[1:2]
	v_mad_u64_u32 v[7:8], null, s13, v0, v[6:7]
	s_delay_alu instid0(VALU_DEP_2) | instskip(NEXT) | instid1(VALU_DEP_3)
	v_add_co_u32 v1, vcc_lo, s8, v1
	v_add_co_ci_u32_e32 v2, vcc_lo, s9, v2, vcc_lo
	s_waitcnt lgkmcnt(0)
	s_mul_i32 s1, s15, s1
	s_mul_hi_u32 s8, s15, s0
	s_delay_alu instid0(VALU_DEP_3) | instskip(SKIP_3) | instid1(SALU_CYCLE_1)
	v_mov_b32_e32 v6, v7
	global_load_b128 v[1:4], v[1:2], off
	s_mul_i32 s0, s15, s0
	s_add_i32 s1, s8, s1
	s_lshl_b64 s[0:1], s[0:1], 4
	v_lshlrev_b64 v[5:6], 4, v[5:6]
	s_add_u32 s8, s10, s0
	s_addc_u32 s9, s11, s1
	s_lshl_b64 s[0:1], s[2:3], 4
	s_delay_alu instid0(SALU_CYCLE_1)
	s_add_u32 s0, s0, s8
	s_addc_u32 s1, s1, s9
	v_add_co_u32 v9, vcc_lo, s0, v5
	v_add_co_ci_u32_e32 v10, vcc_lo, s1, v6, vcc_lo
	global_load_b128 v[5:8], v[9:10], off
	s_waitcnt vmcnt(1)
	v_mul_f64 v[11:12], s[6:7], v[3:4]
	v_mul_f64 v[3:4], s[4:5], v[3:4]
	s_delay_alu instid0(VALU_DEP_2) | instskip(NEXT) | instid1(VALU_DEP_2)
	v_fma_f64 v[11:12], s[4:5], v[1:2], -v[11:12]
	v_fma_f64 v[2:3], s[6:7], v[1:2], v[3:4]
	s_waitcnt vmcnt(0)
	s_delay_alu instid0(VALU_DEP_2) | instskip(NEXT) | instid1(VALU_DEP_2)
	v_add_f64 v[0:1], v[5:6], v[11:12]
	v_add_f64 v[2:3], v[7:8], v[2:3]
	global_store_b128 v[9:10], v[0:3], off
.LBB56_2:
	s_nop 0
	s_sendmsg sendmsg(MSG_DEALLOC_VGPRS)
	s_endpgm
	.section	.rodata,"a",@progbits
	.p2align	6, 0x0
	.amdhsa_kernel _ZL19rocblas_axpy_kernelIiLi256E19rocblas_complex_numIdEPKS1_S3_PS1_EviT2_lT3_lT_lT4_lS7_li
		.amdhsa_group_segment_fixed_size 0
		.amdhsa_private_segment_fixed_size 0
		.amdhsa_kernarg_size 92
		.amdhsa_user_sgpr_count 14
		.amdhsa_user_sgpr_dispatch_ptr 0
		.amdhsa_user_sgpr_queue_ptr 0
		.amdhsa_user_sgpr_kernarg_segment_ptr 1
		.amdhsa_user_sgpr_dispatch_id 0
		.amdhsa_user_sgpr_private_segment_size 0
		.amdhsa_wavefront_size32 1
		.amdhsa_uses_dynamic_stack 0
		.amdhsa_enable_private_segment 0
		.amdhsa_system_sgpr_workgroup_id_x 1
		.amdhsa_system_sgpr_workgroup_id_y 0
		.amdhsa_system_sgpr_workgroup_id_z 1
		.amdhsa_system_sgpr_workgroup_info 0
		.amdhsa_system_vgpr_workitem_id 0
		.amdhsa_next_free_vgpr 13
		.amdhsa_next_free_sgpr 20
		.amdhsa_reserve_vcc 1
		.amdhsa_float_round_mode_32 0
		.amdhsa_float_round_mode_16_64 0
		.amdhsa_float_denorm_mode_32 3
		.amdhsa_float_denorm_mode_16_64 3
		.amdhsa_dx10_clamp 1
		.amdhsa_ieee_mode 1
		.amdhsa_fp16_overflow 0
		.amdhsa_workgroup_processor_mode 1
		.amdhsa_memory_ordered 1
		.amdhsa_forward_progress 0
		.amdhsa_shared_vgpr_count 0
		.amdhsa_exception_fp_ieee_invalid_op 0
		.amdhsa_exception_fp_denorm_src 0
		.amdhsa_exception_fp_ieee_div_zero 0
		.amdhsa_exception_fp_ieee_overflow 0
		.amdhsa_exception_fp_ieee_underflow 0
		.amdhsa_exception_fp_ieee_inexact 0
		.amdhsa_exception_int_div_zero 0
	.end_amdhsa_kernel
	.section	.text._ZL19rocblas_axpy_kernelIiLi256E19rocblas_complex_numIdEPKS1_S3_PS1_EviT2_lT3_lT_lT4_lS7_li,"axG",@progbits,_ZL19rocblas_axpy_kernelIiLi256E19rocblas_complex_numIdEPKS1_S3_PS1_EviT2_lT3_lT_lT4_lS7_li,comdat
.Lfunc_end56:
	.size	_ZL19rocblas_axpy_kernelIiLi256E19rocblas_complex_numIdEPKS1_S3_PS1_EviT2_lT3_lT_lT4_lS7_li, .Lfunc_end56-_ZL19rocblas_axpy_kernelIiLi256E19rocblas_complex_numIdEPKS1_S3_PS1_EviT2_lT3_lT_lT4_lS7_li
                                        ; -- End function
	.section	.AMDGPU.csdata,"",@progbits
; Kernel info:
; codeLenInByte = 476
; NumSgprs: 22
; NumVgprs: 13
; ScratchSize: 0
; MemoryBound: 0
; FloatMode: 240
; IeeeMode: 1
; LDSByteSize: 0 bytes/workgroup (compile time only)
; SGPRBlocks: 2
; VGPRBlocks: 1
; NumSGPRsForWavesPerEU: 22
; NumVGPRsForWavesPerEU: 13
; Occupancy: 16
; WaveLimiterHint : 0
; COMPUTE_PGM_RSRC2:SCRATCH_EN: 0
; COMPUTE_PGM_RSRC2:USER_SGPR: 14
; COMPUTE_PGM_RSRC2:TRAP_HANDLER: 0
; COMPUTE_PGM_RSRC2:TGID_X_EN: 1
; COMPUTE_PGM_RSRC2:TGID_Y_EN: 0
; COMPUTE_PGM_RSRC2:TGID_Z_EN: 1
; COMPUTE_PGM_RSRC2:TIDIG_COMP_CNT: 0
	.section	.text._ZL19rocblas_axpy_kernelIiLi256E19rocblas_complex_numIdES1_PKS1_PS1_EviT2_lT3_lT_lT4_lS7_li,"axG",@progbits,_ZL19rocblas_axpy_kernelIiLi256E19rocblas_complex_numIdES1_PKS1_PS1_EviT2_lT3_lT_lT4_lS7_li,comdat
	.globl	_ZL19rocblas_axpy_kernelIiLi256E19rocblas_complex_numIdES1_PKS1_PS1_EviT2_lT3_lT_lT4_lS7_li ; -- Begin function _ZL19rocblas_axpy_kernelIiLi256E19rocblas_complex_numIdES1_PKS1_PS1_EviT2_lT3_lT_lT4_lS7_li
	.p2align	8
	.type	_ZL19rocblas_axpy_kernelIiLi256E19rocblas_complex_numIdES1_PKS1_PS1_EviT2_lT3_lT_lT4_lS7_li,@function
_ZL19rocblas_axpy_kernelIiLi256E19rocblas_complex_numIdES1_PKS1_PS1_EviT2_lT3_lT_lT4_lS7_li: ; @_ZL19rocblas_axpy_kernelIiLi256E19rocblas_complex_numIdES1_PKS1_PS1_EviT2_lT3_lT_lT4_lS7_li
; %bb.0:
	s_clause 0x1
	s_load_b128 s[4:7], s[0:1], 0x8
	s_load_b32 s2, s[0:1], 0x0
	v_lshl_or_b32 v0, s14, 8, v0
	v_mov_b32_e32 v1, 0
	s_waitcnt lgkmcnt(0)
	v_cmp_neq_f64_e64 s8, s[4:5], 0
	v_cmp_neq_f64_e64 s9, s[6:7], 0
	s_ashr_i32 s3, s2, 31
	s_delay_alu instid0(SALU_CYCLE_1) | instskip(NEXT) | instid1(VALU_DEP_2)
	v_cmp_gt_i64_e32 vcc_lo, s[2:3], v[0:1]
	s_or_b32 s2, s8, s9
	s_delay_alu instid0(SALU_CYCLE_1) | instskip(NEXT) | instid1(SALU_CYCLE_1)
	s_and_b32 s2, vcc_lo, s2
	s_and_saveexec_b32 s3, s2
	s_cbranch_execz .LBB57_2
; %bb.1:
	s_clause 0x3
	s_load_b32 s2, s[0:1], 0x30
	s_load_b128 s[8:11], s[0:1], 0x38
	s_load_b32 s12, s[0:1], 0x50
	s_load_b128 s[16:19], s[0:1], 0x20
	s_waitcnt lgkmcnt(0)
	v_mad_u64_u32 v[1:2], null, s2, v0, 0
	s_ashr_i32 s2, s2, 31
	s_mul_i32 s9, s15, s9
	s_mul_hi_u32 s13, s15, s8
	s_mul_i32 s8, s15, s8
	s_add_i32 s9, s13, s9
	s_ashr_i32 s13, s12, 31
	s_delay_alu instid0(VALU_DEP_1)
	v_mad_u64_u32 v[3:4], null, s2, v0, v[2:3]
	s_lshl_b64 s[8:9], s[8:9], 4
	s_clause 0x1
	s_load_b64 s[2:3], s[0:1], 0x48
	s_load_b64 s[0:1], s[0:1], 0x58
	s_add_u32 s14, s16, s8
	s_addc_u32 s16, s17, s9
	s_lshl_b64 s[8:9], s[18:19], 4
	v_mad_u64_u32 v[5:6], null, s12, v0, 0
	v_mov_b32_e32 v2, v3
	s_add_u32 s8, s8, s14
	s_addc_u32 s9, s9, s16
	s_delay_alu instid0(VALU_DEP_1) | instskip(NEXT) | instid1(VALU_DEP_3)
	v_lshlrev_b64 v[1:2], 4, v[1:2]
	v_mad_u64_u32 v[7:8], null, s13, v0, v[6:7]
	s_delay_alu instid0(VALU_DEP_2) | instskip(NEXT) | instid1(VALU_DEP_3)
	v_add_co_u32 v1, vcc_lo, s8, v1
	v_add_co_ci_u32_e32 v2, vcc_lo, s9, v2, vcc_lo
	s_waitcnt lgkmcnt(0)
	s_mul_i32 s1, s15, s1
	s_mul_hi_u32 s8, s15, s0
	s_delay_alu instid0(VALU_DEP_3) | instskip(SKIP_3) | instid1(SALU_CYCLE_1)
	v_mov_b32_e32 v6, v7
	global_load_b128 v[1:4], v[1:2], off
	s_mul_i32 s0, s15, s0
	s_add_i32 s1, s8, s1
	s_lshl_b64 s[0:1], s[0:1], 4
	v_lshlrev_b64 v[5:6], 4, v[5:6]
	s_add_u32 s8, s10, s0
	s_addc_u32 s9, s11, s1
	s_lshl_b64 s[0:1], s[2:3], 4
	s_delay_alu instid0(SALU_CYCLE_1)
	s_add_u32 s0, s0, s8
	s_addc_u32 s1, s1, s9
	v_add_co_u32 v9, vcc_lo, s0, v5
	v_add_co_ci_u32_e32 v10, vcc_lo, s1, v6, vcc_lo
	global_load_b128 v[5:8], v[9:10], off
	s_waitcnt vmcnt(1)
	v_mul_f64 v[11:12], s[6:7], v[3:4]
	v_mul_f64 v[3:4], s[4:5], v[3:4]
	s_delay_alu instid0(VALU_DEP_2) | instskip(NEXT) | instid1(VALU_DEP_2)
	v_fma_f64 v[11:12], s[4:5], v[1:2], -v[11:12]
	v_fma_f64 v[2:3], s[6:7], v[1:2], v[3:4]
	s_waitcnt vmcnt(0)
	s_delay_alu instid0(VALU_DEP_2) | instskip(NEXT) | instid1(VALU_DEP_2)
	v_add_f64 v[0:1], v[5:6], v[11:12]
	v_add_f64 v[2:3], v[7:8], v[2:3]
	global_store_b128 v[9:10], v[0:3], off
.LBB57_2:
	s_nop 0
	s_sendmsg sendmsg(MSG_DEALLOC_VGPRS)
	s_endpgm
	.section	.rodata,"a",@progbits
	.p2align	6, 0x0
	.amdhsa_kernel _ZL19rocblas_axpy_kernelIiLi256E19rocblas_complex_numIdES1_PKS1_PS1_EviT2_lT3_lT_lT4_lS7_li
		.amdhsa_group_segment_fixed_size 0
		.amdhsa_private_segment_fixed_size 0
		.amdhsa_kernarg_size 100
		.amdhsa_user_sgpr_count 14
		.amdhsa_user_sgpr_dispatch_ptr 0
		.amdhsa_user_sgpr_queue_ptr 0
		.amdhsa_user_sgpr_kernarg_segment_ptr 1
		.amdhsa_user_sgpr_dispatch_id 0
		.amdhsa_user_sgpr_private_segment_size 0
		.amdhsa_wavefront_size32 1
		.amdhsa_uses_dynamic_stack 0
		.amdhsa_enable_private_segment 0
		.amdhsa_system_sgpr_workgroup_id_x 1
		.amdhsa_system_sgpr_workgroup_id_y 0
		.amdhsa_system_sgpr_workgroup_id_z 1
		.amdhsa_system_sgpr_workgroup_info 0
		.amdhsa_system_vgpr_workitem_id 0
		.amdhsa_next_free_vgpr 13
		.amdhsa_next_free_sgpr 20
		.amdhsa_reserve_vcc 1
		.amdhsa_float_round_mode_32 0
		.amdhsa_float_round_mode_16_64 0
		.amdhsa_float_denorm_mode_32 3
		.amdhsa_float_denorm_mode_16_64 3
		.amdhsa_dx10_clamp 1
		.amdhsa_ieee_mode 1
		.amdhsa_fp16_overflow 0
		.amdhsa_workgroup_processor_mode 1
		.amdhsa_memory_ordered 1
		.amdhsa_forward_progress 0
		.amdhsa_shared_vgpr_count 0
		.amdhsa_exception_fp_ieee_invalid_op 0
		.amdhsa_exception_fp_denorm_src 0
		.amdhsa_exception_fp_ieee_div_zero 0
		.amdhsa_exception_fp_ieee_overflow 0
		.amdhsa_exception_fp_ieee_underflow 0
		.amdhsa_exception_fp_ieee_inexact 0
		.amdhsa_exception_int_div_zero 0
	.end_amdhsa_kernel
	.section	.text._ZL19rocblas_axpy_kernelIiLi256E19rocblas_complex_numIdES1_PKS1_PS1_EviT2_lT3_lT_lT4_lS7_li,"axG",@progbits,_ZL19rocblas_axpy_kernelIiLi256E19rocblas_complex_numIdES1_PKS1_PS1_EviT2_lT3_lT_lT4_lS7_li,comdat
.Lfunc_end57:
	.size	_ZL19rocblas_axpy_kernelIiLi256E19rocblas_complex_numIdES1_PKS1_PS1_EviT2_lT3_lT_lT4_lS7_li, .Lfunc_end57-_ZL19rocblas_axpy_kernelIiLi256E19rocblas_complex_numIdES1_PKS1_PS1_EviT2_lT3_lT_lT4_lS7_li
                                        ; -- End function
	.section	.AMDGPU.csdata,"",@progbits
; Kernel info:
; codeLenInByte = 436
; NumSgprs: 22
; NumVgprs: 13
; ScratchSize: 0
; MemoryBound: 0
; FloatMode: 240
; IeeeMode: 1
; LDSByteSize: 0 bytes/workgroup (compile time only)
; SGPRBlocks: 2
; VGPRBlocks: 1
; NumSGPRsForWavesPerEU: 22
; NumVGPRsForWavesPerEU: 13
; Occupancy: 16
; WaveLimiterHint : 0
; COMPUTE_PGM_RSRC2:SCRATCH_EN: 0
; COMPUTE_PGM_RSRC2:USER_SGPR: 14
; COMPUTE_PGM_RSRC2:TRAP_HANDLER: 0
; COMPUTE_PGM_RSRC2:TGID_X_EN: 1
; COMPUTE_PGM_RSRC2:TGID_Y_EN: 0
; COMPUTE_PGM_RSRC2:TGID_Z_EN: 1
; COMPUTE_PGM_RSRC2:TIDIG_COMP_CNT: 0
	.section	.text._ZL19rocblas_axpy_kernelIlLi256E19rocblas_complex_numIdEPKS1_S3_PS1_EviT2_lT3_lT_lT4_lS7_li,"axG",@progbits,_ZL19rocblas_axpy_kernelIlLi256E19rocblas_complex_numIdEPKS1_S3_PS1_EviT2_lT3_lT_lT4_lS7_li,comdat
	.globl	_ZL19rocblas_axpy_kernelIlLi256E19rocblas_complex_numIdEPKS1_S3_PS1_EviT2_lT3_lT_lT4_lS7_li ; -- Begin function _ZL19rocblas_axpy_kernelIlLi256E19rocblas_complex_numIdEPKS1_S3_PS1_EviT2_lT3_lT_lT4_lS7_li
	.p2align	8
	.type	_ZL19rocblas_axpy_kernelIlLi256E19rocblas_complex_numIdEPKS1_S3_PS1_EviT2_lT3_lT_lT4_lS7_li,@function
_ZL19rocblas_axpy_kernelIlLi256E19rocblas_complex_numIdEPKS1_S3_PS1_EviT2_lT3_lT_lT4_lS7_li: ; @_ZL19rocblas_axpy_kernelIlLi256E19rocblas_complex_numIdEPKS1_S3_PS1_EviT2_lT3_lT_lT4_lS7_li
; %bb.0:
	s_clause 0x1
	s_load_b128 s[4:7], s[0:1], 0x8
	s_load_b32 s2, s[0:1], 0x0
	v_lshl_or_b32 v0, s14, 8, v0
	v_mov_b32_e32 v1, 0
	s_waitcnt lgkmcnt(0)
	s_mul_i32 s3, s15, s7
	s_mul_hi_u32 s7, s15, s6
	s_mul_i32 s6, s15, s6
	s_add_i32 s7, s7, s3
	s_ashr_i32 s3, s2, 31
	s_lshl_b64 s[6:7], s[6:7], 4
	v_cmp_gt_i64_e32 vcc_lo, s[2:3], v[0:1]
	s_add_u32 s4, s4, s6
	s_addc_u32 s5, s5, s7
	s_load_b128 s[16:19], s[4:5], 0x0
	s_waitcnt lgkmcnt(0)
	v_cmp_neq_f64_e64 s4, s[16:17], 0
	v_cmp_neq_f64_e64 s5, s[18:19], 0
	s_delay_alu instid0(VALU_DEP_1) | instskip(NEXT) | instid1(SALU_CYCLE_1)
	s_or_b32 s2, s4, s5
	s_and_b32 s2, vcc_lo, s2
	s_delay_alu instid0(SALU_CYCLE_1)
	s_and_saveexec_b32 s3, s2
	s_cbranch_execz .LBB58_2
; %bb.1:
	s_clause 0x3
	s_load_b128 s[20:23], s[0:1], 0x20
	s_load_b256 s[4:11], s[0:1], 0x30
	s_load_b64 s[2:3], s[0:1], 0x18
	s_load_b64 s[0:1], s[0:1], 0x50
	s_waitcnt lgkmcnt(0)
	v_mad_u64_u32 v[1:2], null, v0, s22, 0
	s_mul_i32 s5, s15, s5
	s_mul_hi_u32 s12, s15, s4
	s_mul_i32 s4, s15, s4
	s_add_i32 s5, s12, s5
	v_mad_u64_u32 v[5:6], null, v0, s10, 0
	s_delay_alu instid0(VALU_DEP_2)
	v_mad_u64_u32 v[3:4], null, v0, s23, v[2:3]
	s_lshl_b64 s[4:5], s[4:5], 4
	s_mul_i32 s1, s15, s1
	s_add_u32 s4, s2, s4
	s_addc_u32 s5, s3, s5
	s_lshl_b64 s[2:3], s[20:21], 4
	s_delay_alu instid0(VALU_DEP_2) | instskip(NEXT) | instid1(VALU_DEP_2)
	v_mad_u64_u32 v[7:8], null, v0, s11, v[6:7]
	v_mov_b32_e32 v2, v3
	s_add_u32 s2, s2, s4
	s_addc_u32 s3, s3, s5
	s_delay_alu instid0(VALU_DEP_1) | instskip(NEXT) | instid1(VALU_DEP_3)
	v_lshlrev_b64 v[1:2], 4, v[1:2]
	v_mov_b32_e32 v6, v7
	s_delay_alu instid0(VALU_DEP_1) | instskip(NEXT) | instid1(VALU_DEP_3)
	v_lshlrev_b64 v[5:6], 4, v[5:6]
	v_add_co_u32 v1, vcc_lo, s2, v1
	s_delay_alu instid0(VALU_DEP_4)
	v_add_co_ci_u32_e32 v2, vcc_lo, s3, v2, vcc_lo
	s_mul_hi_u32 s2, s15, s0
	s_mul_i32 s0, s15, s0
	s_add_i32 s1, s2, s1
	global_load_b128 v[1:4], v[1:2], off
	s_lshl_b64 s[0:1], s[0:1], 4
	s_delay_alu instid0(SALU_CYCLE_1) | instskip(SKIP_2) | instid1(SALU_CYCLE_1)
	s_add_u32 s2, s6, s0
	s_addc_u32 s3, s7, s1
	s_lshl_b64 s[0:1], s[8:9], 4
	s_add_u32 s0, s0, s2
	s_addc_u32 s1, s1, s3
	v_add_co_u32 v9, vcc_lo, s0, v5
	v_add_co_ci_u32_e32 v10, vcc_lo, s1, v6, vcc_lo
	global_load_b128 v[5:8], v[9:10], off
	s_waitcnt vmcnt(1)
	v_mul_f64 v[11:12], s[18:19], v[3:4]
	v_mul_f64 v[3:4], s[16:17], v[3:4]
	s_delay_alu instid0(VALU_DEP_2) | instskip(NEXT) | instid1(VALU_DEP_2)
	v_fma_f64 v[11:12], s[16:17], v[1:2], -v[11:12]
	v_fma_f64 v[2:3], s[18:19], v[1:2], v[3:4]
	s_waitcnt vmcnt(0)
	s_delay_alu instid0(VALU_DEP_2) | instskip(NEXT) | instid1(VALU_DEP_2)
	v_add_f64 v[0:1], v[5:6], v[11:12]
	v_add_f64 v[2:3], v[7:8], v[2:3]
	global_store_b128 v[9:10], v[0:3], off
.LBB58_2:
	s_nop 0
	s_sendmsg sendmsg(MSG_DEALLOC_VGPRS)
	s_endpgm
	.section	.rodata,"a",@progbits
	.p2align	6, 0x0
	.amdhsa_kernel _ZL19rocblas_axpy_kernelIlLi256E19rocblas_complex_numIdEPKS1_S3_PS1_EviT2_lT3_lT_lT4_lS7_li
		.amdhsa_group_segment_fixed_size 0
		.amdhsa_private_segment_fixed_size 0
		.amdhsa_kernarg_size 92
		.amdhsa_user_sgpr_count 14
		.amdhsa_user_sgpr_dispatch_ptr 0
		.amdhsa_user_sgpr_queue_ptr 0
		.amdhsa_user_sgpr_kernarg_segment_ptr 1
		.amdhsa_user_sgpr_dispatch_id 0
		.amdhsa_user_sgpr_private_segment_size 0
		.amdhsa_wavefront_size32 1
		.amdhsa_uses_dynamic_stack 0
		.amdhsa_enable_private_segment 0
		.amdhsa_system_sgpr_workgroup_id_x 1
		.amdhsa_system_sgpr_workgroup_id_y 0
		.amdhsa_system_sgpr_workgroup_id_z 1
		.amdhsa_system_sgpr_workgroup_info 0
		.amdhsa_system_vgpr_workitem_id 0
		.amdhsa_next_free_vgpr 13
		.amdhsa_next_free_sgpr 24
		.amdhsa_reserve_vcc 1
		.amdhsa_float_round_mode_32 0
		.amdhsa_float_round_mode_16_64 0
		.amdhsa_float_denorm_mode_32 3
		.amdhsa_float_denorm_mode_16_64 3
		.amdhsa_dx10_clamp 1
		.amdhsa_ieee_mode 1
		.amdhsa_fp16_overflow 0
		.amdhsa_workgroup_processor_mode 1
		.amdhsa_memory_ordered 1
		.amdhsa_forward_progress 0
		.amdhsa_shared_vgpr_count 0
		.amdhsa_exception_fp_ieee_invalid_op 0
		.amdhsa_exception_fp_denorm_src 0
		.amdhsa_exception_fp_ieee_div_zero 0
		.amdhsa_exception_fp_ieee_overflow 0
		.amdhsa_exception_fp_ieee_underflow 0
		.amdhsa_exception_fp_ieee_inexact 0
		.amdhsa_exception_int_div_zero 0
	.end_amdhsa_kernel
	.section	.text._ZL19rocblas_axpy_kernelIlLi256E19rocblas_complex_numIdEPKS1_S3_PS1_EviT2_lT3_lT_lT4_lS7_li,"axG",@progbits,_ZL19rocblas_axpy_kernelIlLi256E19rocblas_complex_numIdEPKS1_S3_PS1_EviT2_lT3_lT_lT4_lS7_li,comdat
.Lfunc_end58:
	.size	_ZL19rocblas_axpy_kernelIlLi256E19rocblas_complex_numIdEPKS1_S3_PS1_EviT2_lT3_lT_lT4_lS7_li, .Lfunc_end58-_ZL19rocblas_axpy_kernelIlLi256E19rocblas_complex_numIdEPKS1_S3_PS1_EviT2_lT3_lT_lT4_lS7_li
                                        ; -- End function
	.section	.AMDGPU.csdata,"",@progbits
; Kernel info:
; codeLenInByte = 448
; NumSgprs: 26
; NumVgprs: 13
; ScratchSize: 0
; MemoryBound: 0
; FloatMode: 240
; IeeeMode: 1
; LDSByteSize: 0 bytes/workgroup (compile time only)
; SGPRBlocks: 3
; VGPRBlocks: 1
; NumSGPRsForWavesPerEU: 26
; NumVGPRsForWavesPerEU: 13
; Occupancy: 16
; WaveLimiterHint : 0
; COMPUTE_PGM_RSRC2:SCRATCH_EN: 0
; COMPUTE_PGM_RSRC2:USER_SGPR: 14
; COMPUTE_PGM_RSRC2:TRAP_HANDLER: 0
; COMPUTE_PGM_RSRC2:TGID_X_EN: 1
; COMPUTE_PGM_RSRC2:TGID_Y_EN: 0
; COMPUTE_PGM_RSRC2:TGID_Z_EN: 1
; COMPUTE_PGM_RSRC2:TIDIG_COMP_CNT: 0
	.section	.text._ZL19rocblas_axpy_kernelIlLi256E19rocblas_complex_numIdES1_PKS1_PS1_EviT2_lT3_lT_lT4_lS7_li,"axG",@progbits,_ZL19rocblas_axpy_kernelIlLi256E19rocblas_complex_numIdES1_PKS1_PS1_EviT2_lT3_lT_lT4_lS7_li,comdat
	.globl	_ZL19rocblas_axpy_kernelIlLi256E19rocblas_complex_numIdES1_PKS1_PS1_EviT2_lT3_lT_lT4_lS7_li ; -- Begin function _ZL19rocblas_axpy_kernelIlLi256E19rocblas_complex_numIdES1_PKS1_PS1_EviT2_lT3_lT_lT4_lS7_li
	.p2align	8
	.type	_ZL19rocblas_axpy_kernelIlLi256E19rocblas_complex_numIdES1_PKS1_PS1_EviT2_lT3_lT_lT4_lS7_li,@function
_ZL19rocblas_axpy_kernelIlLi256E19rocblas_complex_numIdES1_PKS1_PS1_EviT2_lT3_lT_lT4_lS7_li: ; @_ZL19rocblas_axpy_kernelIlLi256E19rocblas_complex_numIdES1_PKS1_PS1_EviT2_lT3_lT_lT4_lS7_li
; %bb.0:
	s_clause 0x1
	s_load_b128 s[16:19], s[0:1], 0x8
	s_load_b32 s2, s[0:1], 0x0
	v_lshl_or_b32 v0, s14, 8, v0
	v_mov_b32_e32 v1, 0
	s_waitcnt lgkmcnt(0)
	v_cmp_neq_f64_e64 s4, s[16:17], 0
	v_cmp_neq_f64_e64 s5, s[18:19], 0
	s_ashr_i32 s3, s2, 31
	s_delay_alu instid0(SALU_CYCLE_1) | instskip(NEXT) | instid1(VALU_DEP_2)
	v_cmp_gt_i64_e32 vcc_lo, s[2:3], v[0:1]
	s_or_b32 s2, s4, s5
	s_delay_alu instid0(SALU_CYCLE_1) | instskip(NEXT) | instid1(SALU_CYCLE_1)
	s_and_b32 s2, vcc_lo, s2
	s_and_saveexec_b32 s3, s2
	s_cbranch_execz .LBB59_2
; %bb.1:
	s_clause 0x3
	s_load_b128 s[20:23], s[0:1], 0x28
	s_load_b256 s[4:11], s[0:1], 0x38
	s_load_b64 s[2:3], s[0:1], 0x20
	s_load_b64 s[0:1], s[0:1], 0x58
	s_waitcnt lgkmcnt(0)
	v_mad_u64_u32 v[1:2], null, v0, s22, 0
	s_mul_i32 s5, s15, s5
	s_mul_hi_u32 s12, s15, s4
	s_mul_i32 s4, s15, s4
	s_add_i32 s5, s12, s5
	v_mad_u64_u32 v[5:6], null, v0, s10, 0
	s_delay_alu instid0(VALU_DEP_2)
	v_mad_u64_u32 v[3:4], null, v0, s23, v[2:3]
	s_lshl_b64 s[4:5], s[4:5], 4
	s_mul_i32 s1, s15, s1
	s_add_u32 s4, s2, s4
	s_addc_u32 s5, s3, s5
	s_lshl_b64 s[2:3], s[20:21], 4
	s_delay_alu instid0(VALU_DEP_2) | instskip(NEXT) | instid1(VALU_DEP_2)
	v_mad_u64_u32 v[7:8], null, v0, s11, v[6:7]
	v_mov_b32_e32 v2, v3
	s_add_u32 s2, s2, s4
	s_addc_u32 s3, s3, s5
	s_delay_alu instid0(VALU_DEP_1) | instskip(NEXT) | instid1(VALU_DEP_3)
	v_lshlrev_b64 v[1:2], 4, v[1:2]
	v_mov_b32_e32 v6, v7
	s_delay_alu instid0(VALU_DEP_1) | instskip(NEXT) | instid1(VALU_DEP_3)
	v_lshlrev_b64 v[5:6], 4, v[5:6]
	v_add_co_u32 v1, vcc_lo, s2, v1
	s_delay_alu instid0(VALU_DEP_4)
	v_add_co_ci_u32_e32 v2, vcc_lo, s3, v2, vcc_lo
	s_mul_hi_u32 s2, s15, s0
	s_mul_i32 s0, s15, s0
	s_add_i32 s1, s2, s1
	global_load_b128 v[1:4], v[1:2], off
	s_lshl_b64 s[0:1], s[0:1], 4
	s_delay_alu instid0(SALU_CYCLE_1) | instskip(SKIP_2) | instid1(SALU_CYCLE_1)
	s_add_u32 s2, s6, s0
	s_addc_u32 s3, s7, s1
	s_lshl_b64 s[0:1], s[8:9], 4
	s_add_u32 s0, s0, s2
	s_addc_u32 s1, s1, s3
	v_add_co_u32 v9, vcc_lo, s0, v5
	v_add_co_ci_u32_e32 v10, vcc_lo, s1, v6, vcc_lo
	global_load_b128 v[5:8], v[9:10], off
	s_waitcnt vmcnt(1)
	v_mul_f64 v[11:12], s[18:19], v[3:4]
	v_mul_f64 v[3:4], s[16:17], v[3:4]
	s_delay_alu instid0(VALU_DEP_2) | instskip(NEXT) | instid1(VALU_DEP_2)
	v_fma_f64 v[11:12], s[16:17], v[1:2], -v[11:12]
	v_fma_f64 v[2:3], s[18:19], v[1:2], v[3:4]
	s_waitcnt vmcnt(0)
	s_delay_alu instid0(VALU_DEP_2) | instskip(NEXT) | instid1(VALU_DEP_2)
	v_add_f64 v[0:1], v[5:6], v[11:12]
	v_add_f64 v[2:3], v[7:8], v[2:3]
	global_store_b128 v[9:10], v[0:3], off
.LBB59_2:
	s_nop 0
	s_sendmsg sendmsg(MSG_DEALLOC_VGPRS)
	s_endpgm
	.section	.rodata,"a",@progbits
	.p2align	6, 0x0
	.amdhsa_kernel _ZL19rocblas_axpy_kernelIlLi256E19rocblas_complex_numIdES1_PKS1_PS1_EviT2_lT3_lT_lT4_lS7_li
		.amdhsa_group_segment_fixed_size 0
		.amdhsa_private_segment_fixed_size 0
		.amdhsa_kernarg_size 100
		.amdhsa_user_sgpr_count 14
		.amdhsa_user_sgpr_dispatch_ptr 0
		.amdhsa_user_sgpr_queue_ptr 0
		.amdhsa_user_sgpr_kernarg_segment_ptr 1
		.amdhsa_user_sgpr_dispatch_id 0
		.amdhsa_user_sgpr_private_segment_size 0
		.amdhsa_wavefront_size32 1
		.amdhsa_uses_dynamic_stack 0
		.amdhsa_enable_private_segment 0
		.amdhsa_system_sgpr_workgroup_id_x 1
		.amdhsa_system_sgpr_workgroup_id_y 0
		.amdhsa_system_sgpr_workgroup_id_z 1
		.amdhsa_system_sgpr_workgroup_info 0
		.amdhsa_system_vgpr_workitem_id 0
		.amdhsa_next_free_vgpr 13
		.amdhsa_next_free_sgpr 24
		.amdhsa_reserve_vcc 1
		.amdhsa_float_round_mode_32 0
		.amdhsa_float_round_mode_16_64 0
		.amdhsa_float_denorm_mode_32 3
		.amdhsa_float_denorm_mode_16_64 3
		.amdhsa_dx10_clamp 1
		.amdhsa_ieee_mode 1
		.amdhsa_fp16_overflow 0
		.amdhsa_workgroup_processor_mode 1
		.amdhsa_memory_ordered 1
		.amdhsa_forward_progress 0
		.amdhsa_shared_vgpr_count 0
		.amdhsa_exception_fp_ieee_invalid_op 0
		.amdhsa_exception_fp_denorm_src 0
		.amdhsa_exception_fp_ieee_div_zero 0
		.amdhsa_exception_fp_ieee_overflow 0
		.amdhsa_exception_fp_ieee_underflow 0
		.amdhsa_exception_fp_ieee_inexact 0
		.amdhsa_exception_int_div_zero 0
	.end_amdhsa_kernel
	.section	.text._ZL19rocblas_axpy_kernelIlLi256E19rocblas_complex_numIdES1_PKS1_PS1_EviT2_lT3_lT_lT4_lS7_li,"axG",@progbits,_ZL19rocblas_axpy_kernelIlLi256E19rocblas_complex_numIdES1_PKS1_PS1_EviT2_lT3_lT_lT4_lS7_li,comdat
.Lfunc_end59:
	.size	_ZL19rocblas_axpy_kernelIlLi256E19rocblas_complex_numIdES1_PKS1_PS1_EviT2_lT3_lT_lT4_lS7_li, .Lfunc_end59-_ZL19rocblas_axpy_kernelIlLi256E19rocblas_complex_numIdES1_PKS1_PS1_EviT2_lT3_lT_lT4_lS7_li
                                        ; -- End function
	.section	.AMDGPU.csdata,"",@progbits
; Kernel info:
; codeLenInByte = 408
; NumSgprs: 26
; NumVgprs: 13
; ScratchSize: 0
; MemoryBound: 0
; FloatMode: 240
; IeeeMode: 1
; LDSByteSize: 0 bytes/workgroup (compile time only)
; SGPRBlocks: 3
; VGPRBlocks: 1
; NumSGPRsForWavesPerEU: 26
; NumVGPRsForWavesPerEU: 13
; Occupancy: 16
; WaveLimiterHint : 0
; COMPUTE_PGM_RSRC2:SCRATCH_EN: 0
; COMPUTE_PGM_RSRC2:USER_SGPR: 14
; COMPUTE_PGM_RSRC2:TRAP_HANDLER: 0
; COMPUTE_PGM_RSRC2:TGID_X_EN: 1
; COMPUTE_PGM_RSRC2:TGID_Y_EN: 0
; COMPUTE_PGM_RSRC2:TGID_Z_EN: 1
; COMPUTE_PGM_RSRC2:TIDIG_COMP_CNT: 0
	.section	.text._ZL26rocblas_haxpy_mlt_8_kernelILi256EPKDF16_PKS1_PKPDF16_EviT0_lT1_llT2_lli,"axG",@progbits,_ZL26rocblas_haxpy_mlt_8_kernelILi256EPKDF16_PKS1_PKPDF16_EviT0_lT1_llT2_lli,comdat
	.globl	_ZL26rocblas_haxpy_mlt_8_kernelILi256EPKDF16_PKS1_PKPDF16_EviT0_lT1_llT2_lli ; -- Begin function _ZL26rocblas_haxpy_mlt_8_kernelILi256EPKDF16_PKS1_PKPDF16_EviT0_lT1_llT2_lli
	.p2align	8
	.type	_ZL26rocblas_haxpy_mlt_8_kernelILi256EPKDF16_PKS1_PKPDF16_EviT0_lT1_llT2_lli,@function
_ZL26rocblas_haxpy_mlt_8_kernelILi256EPKDF16_PKS1_PKPDF16_EviT0_lT1_llT2_lli: ; @_ZL26rocblas_haxpy_mlt_8_kernelILi256EPKDF16_PKS1_PKPDF16_EviT0_lT1_llT2_lli
; %bb.0:
	s_load_b256 s[4:11], s[0:1], 0x8
	v_mov_b32_e32 v1, 0
	s_waitcnt lgkmcnt(0)
	s_mul_i32 s3, s15, s7
	s_mul_hi_u32 s7, s15, s6
	s_mul_i32 s6, s15, s6
	s_add_i32 s7, s7, s3
	s_mov_b32 s3, 0
	s_lshl_b64 s[6:7], s[6:7], 1
	s_delay_alu instid0(SALU_CYCLE_1) | instskip(SKIP_4) | instid1(VALU_DEP_1)
	s_add_u32 s4, s4, s6
	s_addc_u32 s5, s5, s7
	global_load_u16 v2, v1, s[4:5]
	s_waitcnt vmcnt(0)
	v_and_b32_e32 v3, 0xffff, v2
	v_lshl_or_b32 v3, v2, 16, v3
	s_delay_alu instid0(VALU_DEP_1) | instskip(NEXT) | instid1(VALU_DEP_1)
	v_and_b32_e32 v3, 0x7fff, v3
	v_cmp_eq_u32_e32 vcc_lo, 0, v3
	s_cbranch_vccnz .LBB60_3
; %bb.1:
	s_load_b32 s4, s[0:1], 0x0
	v_lshl_or_b32 v0, s14, 8, v0
	s_delay_alu instid0(VALU_DEP_1)
	v_lshlrev_b64 v[0:1], 3, v[0:1]
	s_waitcnt lgkmcnt(0)
	s_ashr_i32 s5, s4, 31
	s_delay_alu instid0(VALU_DEP_1) | instid1(SALU_CYCLE_1)
	v_cmp_gt_i64_e32 vcc_lo, s[4:5], v[0:1]
	s_and_saveexec_b32 s4, vcc_lo
	s_cbranch_execz .LBB60_3
; %bb.2:
	s_mov_b32 s2, s15
	v_lshlrev_b64 v[0:1], 1, v[0:1]
	s_lshl_b64 s[4:5], s[2:3], 3
	s_delay_alu instid0(SALU_CYCLE_1)
	s_add_u32 s2, s8, s4
	s_addc_u32 s3, s9, s5
	s_lshl_b64 s[8:9], s[10:11], 1
	s_load_b64 s[6:7], s[2:3], 0x0
	s_load_b128 s[0:3], s[0:1], 0x30
	s_waitcnt lgkmcnt(0)
	s_add_u32 s6, s8, s6
	s_addc_u32 s7, s9, s7
	s_add_u32 s0, s0, s4
	s_addc_u32 s1, s1, s5
	s_lshl_b64 s[2:3], s[2:3], 1
	s_load_b64 s[0:1], s[0:1], 0x0
	v_add_co_u32 v3, vcc_lo, s6, v0
	v_add_co_ci_u32_e32 v4, vcc_lo, s7, v1, vcc_lo
	s_waitcnt lgkmcnt(0)
	s_add_u32 s0, s2, s0
	s_addc_u32 s1, s3, s1
	v_add_co_u32 v0, vcc_lo, s0, v0
	v_add_co_ci_u32_e32 v1, vcc_lo, s1, v1, vcc_lo
	global_load_b128 v[3:6], v[3:4], off
	global_load_b128 v[7:10], v[0:1], off
	s_waitcnt vmcnt(0)
	v_pk_fma_f16 v6, v2, v6, v10 op_sel_hi:[0,1,1]
	v_pk_fma_f16 v5, v2, v5, v9 op_sel_hi:[0,1,1]
	;; [unrolled: 1-line block ×4, first 2 shown]
	global_store_b128 v[0:1], v[3:6], off
.LBB60_3:
	s_nop 0
	s_sendmsg sendmsg(MSG_DEALLOC_VGPRS)
	s_endpgm
	.section	.rodata,"a",@progbits
	.p2align	6, 0x0
	.amdhsa_kernel _ZL26rocblas_haxpy_mlt_8_kernelILi256EPKDF16_PKS1_PKPDF16_EviT0_lT1_llT2_lli
		.amdhsa_group_segment_fixed_size 0
		.amdhsa_private_segment_fixed_size 0
		.amdhsa_kernarg_size 76
		.amdhsa_user_sgpr_count 14
		.amdhsa_user_sgpr_dispatch_ptr 0
		.amdhsa_user_sgpr_queue_ptr 0
		.amdhsa_user_sgpr_kernarg_segment_ptr 1
		.amdhsa_user_sgpr_dispatch_id 0
		.amdhsa_user_sgpr_private_segment_size 0
		.amdhsa_wavefront_size32 1
		.amdhsa_uses_dynamic_stack 0
		.amdhsa_enable_private_segment 0
		.amdhsa_system_sgpr_workgroup_id_x 1
		.amdhsa_system_sgpr_workgroup_id_y 0
		.amdhsa_system_sgpr_workgroup_id_z 1
		.amdhsa_system_sgpr_workgroup_info 0
		.amdhsa_system_vgpr_workitem_id 0
		.amdhsa_next_free_vgpr 11
		.amdhsa_next_free_sgpr 16
		.amdhsa_reserve_vcc 1
		.amdhsa_float_round_mode_32 0
		.amdhsa_float_round_mode_16_64 0
		.amdhsa_float_denorm_mode_32 3
		.amdhsa_float_denorm_mode_16_64 3
		.amdhsa_dx10_clamp 1
		.amdhsa_ieee_mode 1
		.amdhsa_fp16_overflow 0
		.amdhsa_workgroup_processor_mode 1
		.amdhsa_memory_ordered 1
		.amdhsa_forward_progress 0
		.amdhsa_shared_vgpr_count 0
		.amdhsa_exception_fp_ieee_invalid_op 0
		.amdhsa_exception_fp_denorm_src 0
		.amdhsa_exception_fp_ieee_div_zero 0
		.amdhsa_exception_fp_ieee_overflow 0
		.amdhsa_exception_fp_ieee_underflow 0
		.amdhsa_exception_fp_ieee_inexact 0
		.amdhsa_exception_int_div_zero 0
	.end_amdhsa_kernel
	.section	.text._ZL26rocblas_haxpy_mlt_8_kernelILi256EPKDF16_PKS1_PKPDF16_EviT0_lT1_llT2_lli,"axG",@progbits,_ZL26rocblas_haxpy_mlt_8_kernelILi256EPKDF16_PKS1_PKPDF16_EviT0_lT1_llT2_lli,comdat
.Lfunc_end60:
	.size	_ZL26rocblas_haxpy_mlt_8_kernelILi256EPKDF16_PKS1_PKPDF16_EviT0_lT1_llT2_lli, .Lfunc_end60-_ZL26rocblas_haxpy_mlt_8_kernelILi256EPKDF16_PKS1_PKPDF16_EviT0_lT1_llT2_lli
                                        ; -- End function
	.section	.AMDGPU.csdata,"",@progbits
; Kernel info:
; codeLenInByte = 340
; NumSgprs: 18
; NumVgprs: 11
; ScratchSize: 0
; MemoryBound: 0
; FloatMode: 240
; IeeeMode: 1
; LDSByteSize: 0 bytes/workgroup (compile time only)
; SGPRBlocks: 2
; VGPRBlocks: 1
; NumSGPRsForWavesPerEU: 18
; NumVGPRsForWavesPerEU: 11
; Occupancy: 16
; WaveLimiterHint : 1
; COMPUTE_PGM_RSRC2:SCRATCH_EN: 0
; COMPUTE_PGM_RSRC2:USER_SGPR: 14
; COMPUTE_PGM_RSRC2:TRAP_HANDLER: 0
; COMPUTE_PGM_RSRC2:TGID_X_EN: 1
; COMPUTE_PGM_RSRC2:TGID_Y_EN: 0
; COMPUTE_PGM_RSRC2:TGID_Z_EN: 1
; COMPUTE_PGM_RSRC2:TIDIG_COMP_CNT: 0
	.section	.text._ZL26rocblas_haxpy_mod_8_kernelILi256EPKDF16_PKS1_PKPDF16_EviT0_lT1_llT2_lli,"axG",@progbits,_ZL26rocblas_haxpy_mod_8_kernelILi256EPKDF16_PKS1_PKPDF16_EviT0_lT1_llT2_lli,comdat
	.globl	_ZL26rocblas_haxpy_mod_8_kernelILi256EPKDF16_PKS1_PKPDF16_EviT0_lT1_llT2_lli ; -- Begin function _ZL26rocblas_haxpy_mod_8_kernelILi256EPKDF16_PKS1_PKPDF16_EviT0_lT1_llT2_lli
	.p2align	8
	.type	_ZL26rocblas_haxpy_mod_8_kernelILi256EPKDF16_PKS1_PKPDF16_EviT0_lT1_llT2_lli,@function
_ZL26rocblas_haxpy_mod_8_kernelILi256EPKDF16_PKS1_PKPDF16_EviT0_lT1_llT2_lli: ; @_ZL26rocblas_haxpy_mod_8_kernelILi256EPKDF16_PKS1_PKPDF16_EviT0_lT1_llT2_lli
; %bb.0:
	s_clause 0x1
	s_load_b256 s[4:11], s[0:1], 0x8
	s_load_b32 s2, s[0:1], 0x0
	v_mov_b32_e32 v1, 0
	v_lshl_or_b32 v0, s14, 8, v0
	s_mov_b32 s13, 0
	s_waitcnt lgkmcnt(0)
	s_mul_i32 s3, s15, s7
	s_mul_hi_u32 s7, s15, s6
	s_mul_i32 s6, s15, s6
	s_add_i32 s7, s7, s3
	s_ashr_i32 s3, s2, 31
	s_lshl_b64 s[6:7], s[6:7], 1
	v_cmp_gt_i64_e32 vcc_lo, s[2:3], v[0:1]
	s_add_u32 s4, s4, s6
	s_addc_u32 s5, s5, s7
	global_load_u16 v2, v1, s[4:5]
	s_waitcnt vmcnt(0)
	v_cmp_neq_f16_e64 s2, 0, v2
	s_delay_alu instid0(VALU_DEP_1) | instskip(NEXT) | instid1(SALU_CYCLE_1)
	s_and_b32 s2, vcc_lo, s2
	s_and_saveexec_b32 s3, s2
	s_cbranch_execz .LBB61_2
; %bb.1:
	s_mov_b32 s12, s15
	v_lshlrev_b64 v[0:1], 1, v[0:1]
	s_lshl_b64 s[4:5], s[12:13], 3
	s_delay_alu instid0(SALU_CYCLE_1)
	s_add_u32 s2, s8, s4
	s_addc_u32 s3, s9, s5
	s_lshl_b64 s[8:9], s[10:11], 1
	s_load_b64 s[6:7], s[2:3], 0x0
	s_load_b128 s[0:3], s[0:1], 0x30
	s_waitcnt lgkmcnt(0)
	s_add_u32 s6, s8, s6
	s_addc_u32 s7, s9, s7
	s_add_u32 s0, s0, s4
	s_addc_u32 s1, s1, s5
	s_lshl_b64 s[2:3], s[2:3], 1
	s_load_b64 s[0:1], s[0:1], 0x0
	v_add_co_u32 v3, vcc_lo, s6, v0
	v_add_co_ci_u32_e32 v4, vcc_lo, s7, v1, vcc_lo
	s_waitcnt lgkmcnt(0)
	s_add_u32 s0, s2, s0
	s_addc_u32 s1, s3, s1
	v_add_co_u32 v0, vcc_lo, s0, v0
	v_add_co_ci_u32_e32 v1, vcc_lo, s1, v1, vcc_lo
	global_load_u16 v3, v[3:4], off
	global_load_u16 v4, v[0:1], off
	s_waitcnt vmcnt(0)
	v_fmac_f16_e32 v4, v2, v3
	global_store_b16 v[0:1], v4, off
.LBB61_2:
	s_nop 0
	s_sendmsg sendmsg(MSG_DEALLOC_VGPRS)
	s_endpgm
	.section	.rodata,"a",@progbits
	.p2align	6, 0x0
	.amdhsa_kernel _ZL26rocblas_haxpy_mod_8_kernelILi256EPKDF16_PKS1_PKPDF16_EviT0_lT1_llT2_lli
		.amdhsa_group_segment_fixed_size 0
		.amdhsa_private_segment_fixed_size 0
		.amdhsa_kernarg_size 76
		.amdhsa_user_sgpr_count 14
		.amdhsa_user_sgpr_dispatch_ptr 0
		.amdhsa_user_sgpr_queue_ptr 0
		.amdhsa_user_sgpr_kernarg_segment_ptr 1
		.amdhsa_user_sgpr_dispatch_id 0
		.amdhsa_user_sgpr_private_segment_size 0
		.amdhsa_wavefront_size32 1
		.amdhsa_uses_dynamic_stack 0
		.amdhsa_enable_private_segment 0
		.amdhsa_system_sgpr_workgroup_id_x 1
		.amdhsa_system_sgpr_workgroup_id_y 0
		.amdhsa_system_sgpr_workgroup_id_z 1
		.amdhsa_system_sgpr_workgroup_info 0
		.amdhsa_system_vgpr_workitem_id 0
		.amdhsa_next_free_vgpr 5
		.amdhsa_next_free_sgpr 16
		.amdhsa_reserve_vcc 1
		.amdhsa_float_round_mode_32 0
		.amdhsa_float_round_mode_16_64 0
		.amdhsa_float_denorm_mode_32 3
		.amdhsa_float_denorm_mode_16_64 3
		.amdhsa_dx10_clamp 1
		.amdhsa_ieee_mode 1
		.amdhsa_fp16_overflow 0
		.amdhsa_workgroup_processor_mode 1
		.amdhsa_memory_ordered 1
		.amdhsa_forward_progress 0
		.amdhsa_shared_vgpr_count 0
		.amdhsa_exception_fp_ieee_invalid_op 0
		.amdhsa_exception_fp_denorm_src 0
		.amdhsa_exception_fp_ieee_div_zero 0
		.amdhsa_exception_fp_ieee_overflow 0
		.amdhsa_exception_fp_ieee_underflow 0
		.amdhsa_exception_fp_ieee_inexact 0
		.amdhsa_exception_int_div_zero 0
	.end_amdhsa_kernel
	.section	.text._ZL26rocblas_haxpy_mod_8_kernelILi256EPKDF16_PKS1_PKPDF16_EviT0_lT1_llT2_lli,"axG",@progbits,_ZL26rocblas_haxpy_mod_8_kernelILi256EPKDF16_PKS1_PKPDF16_EviT0_lT1_llT2_lli,comdat
.Lfunc_end61:
	.size	_ZL26rocblas_haxpy_mod_8_kernelILi256EPKDF16_PKS1_PKPDF16_EviT0_lT1_llT2_lli, .Lfunc_end61-_ZL26rocblas_haxpy_mod_8_kernelILi256EPKDF16_PKS1_PKPDF16_EviT0_lT1_llT2_lli
                                        ; -- End function
	.section	.AMDGPU.csdata,"",@progbits
; Kernel info:
; codeLenInByte = 272
; NumSgprs: 18
; NumVgprs: 5
; ScratchSize: 0
; MemoryBound: 0
; FloatMode: 240
; IeeeMode: 1
; LDSByteSize: 0 bytes/workgroup (compile time only)
; SGPRBlocks: 2
; VGPRBlocks: 0
; NumSGPRsForWavesPerEU: 18
; NumVGPRsForWavesPerEU: 5
; Occupancy: 16
; WaveLimiterHint : 1
; COMPUTE_PGM_RSRC2:SCRATCH_EN: 0
; COMPUTE_PGM_RSRC2:USER_SGPR: 14
; COMPUTE_PGM_RSRC2:TRAP_HANDLER: 0
; COMPUTE_PGM_RSRC2:TGID_X_EN: 1
; COMPUTE_PGM_RSRC2:TGID_Y_EN: 0
; COMPUTE_PGM_RSRC2:TGID_Z_EN: 1
; COMPUTE_PGM_RSRC2:TIDIG_COMP_CNT: 0
	.section	.text._ZL26rocblas_haxpy_mlt_8_kernelILi256EDF16_PKPKDF16_PKPDF16_EviT0_lT1_llT2_lli,"axG",@progbits,_ZL26rocblas_haxpy_mlt_8_kernelILi256EDF16_PKPKDF16_PKPDF16_EviT0_lT1_llT2_lli,comdat
	.globl	_ZL26rocblas_haxpy_mlt_8_kernelILi256EDF16_PKPKDF16_PKPDF16_EviT0_lT1_llT2_lli ; -- Begin function _ZL26rocblas_haxpy_mlt_8_kernelILi256EDF16_PKPKDF16_PKPDF16_EviT0_lT1_llT2_lli
	.p2align	8
	.type	_ZL26rocblas_haxpy_mlt_8_kernelILi256EDF16_PKPKDF16_PKPDF16_EviT0_lT1_llT2_lli,@function
_ZL26rocblas_haxpy_mlt_8_kernelILi256EDF16_PKPKDF16_PKPDF16_EviT0_lT1_llT2_lli: ; @_ZL26rocblas_haxpy_mlt_8_kernelILi256EDF16_PKPKDF16_PKPDF16_EviT0_lT1_llT2_lli
; %bb.0:
	s_load_b64 s[2:3], s[0:1], 0x0
	s_waitcnt lgkmcnt(0)
	s_pack_ll_b32_b16 s5, s3, s3
	s_delay_alu instid0(SALU_CYCLE_1) | instskip(NEXT) | instid1(SALU_CYCLE_1)
	s_and_b32 s5, s5, 0x7fff
	s_cmp_eq_u32 s5, 0
	s_cbranch_scc1 .LBB62_3
; %bb.1:
	v_lshl_or_b32 v0, s14, 8, v0
	v_mov_b32_e32 v1, 0
	s_ashr_i32 s7, s2, 31
	s_mov_b32 s6, s2
	s_mov_b32 s2, exec_lo
	s_delay_alu instid0(VALU_DEP_1) | instskip(NEXT) | instid1(VALU_DEP_1)
	v_lshlrev_b64 v[0:1], 3, v[0:1]
	v_cmpx_gt_i64_e64 s[6:7], v[0:1]
	s_cbranch_execz .LBB62_3
; %bb.2:
	s_load_b128 s[8:11], s[0:1], 0x10
	s_mov_b32 s4, s15
	s_mov_b32 s5, 0
	v_lshlrev_b64 v[0:1], 1, v[0:1]
	s_lshl_b64 s[12:13], s[4:5], 3
	s_load_b128 s[4:7], s[0:1], 0x28
	s_waitcnt lgkmcnt(0)
	s_add_u32 s0, s8, s12
	s_addc_u32 s1, s9, s13
	s_lshl_b64 s[8:9], s[10:11], 1
	s_load_b64 s[0:1], s[0:1], 0x0
	s_waitcnt lgkmcnt(0)
	s_add_u32 s2, s8, s0
	s_addc_u32 s8, s9, s1
	s_add_u32 s0, s4, s12
	s_addc_u32 s1, s5, s13
	s_lshl_b64 s[4:5], s[6:7], 1
	s_load_b64 s[0:1], s[0:1], 0x0
	v_add_co_u32 v2, vcc_lo, s2, v0
	v_add_co_ci_u32_e32 v3, vcc_lo, s8, v1, vcc_lo
	s_waitcnt lgkmcnt(0)
	s_add_u32 s0, s4, s0
	s_addc_u32 s1, s5, s1
	v_add_co_u32 v8, vcc_lo, s0, v0
	v_add_co_ci_u32_e32 v9, vcc_lo, s1, v1, vcc_lo
	global_load_b128 v[0:3], v[2:3], off
	global_load_b128 v[4:7], v[8:9], off
	s_waitcnt vmcnt(0)
	v_pk_fma_f16 v3, s3, v3, v7 op_sel_hi:[0,1,1]
	v_pk_fma_f16 v2, s3, v2, v6 op_sel_hi:[0,1,1]
	;; [unrolled: 1-line block ×4, first 2 shown]
	global_store_b128 v[8:9], v[0:3], off
.LBB62_3:
	s_nop 0
	s_sendmsg sendmsg(MSG_DEALLOC_VGPRS)
	s_endpgm
	.section	.rodata,"a",@progbits
	.p2align	6, 0x0
	.amdhsa_kernel _ZL26rocblas_haxpy_mlt_8_kernelILi256EDF16_PKPKDF16_PKPDF16_EviT0_lT1_llT2_lli
		.amdhsa_group_segment_fixed_size 0
		.amdhsa_private_segment_fixed_size 0
		.amdhsa_kernarg_size 68
		.amdhsa_user_sgpr_count 14
		.amdhsa_user_sgpr_dispatch_ptr 0
		.amdhsa_user_sgpr_queue_ptr 0
		.amdhsa_user_sgpr_kernarg_segment_ptr 1
		.amdhsa_user_sgpr_dispatch_id 0
		.amdhsa_user_sgpr_private_segment_size 0
		.amdhsa_wavefront_size32 1
		.amdhsa_uses_dynamic_stack 0
		.amdhsa_enable_private_segment 0
		.amdhsa_system_sgpr_workgroup_id_x 1
		.amdhsa_system_sgpr_workgroup_id_y 0
		.amdhsa_system_sgpr_workgroup_id_z 1
		.amdhsa_system_sgpr_workgroup_info 0
		.amdhsa_system_vgpr_workitem_id 0
		.amdhsa_next_free_vgpr 10
		.amdhsa_next_free_sgpr 16
		.amdhsa_reserve_vcc 1
		.amdhsa_float_round_mode_32 0
		.amdhsa_float_round_mode_16_64 0
		.amdhsa_float_denorm_mode_32 3
		.amdhsa_float_denorm_mode_16_64 3
		.amdhsa_dx10_clamp 1
		.amdhsa_ieee_mode 1
		.amdhsa_fp16_overflow 0
		.amdhsa_workgroup_processor_mode 1
		.amdhsa_memory_ordered 1
		.amdhsa_forward_progress 0
		.amdhsa_shared_vgpr_count 0
		.amdhsa_exception_fp_ieee_invalid_op 0
		.amdhsa_exception_fp_denorm_src 0
		.amdhsa_exception_fp_ieee_div_zero 0
		.amdhsa_exception_fp_ieee_overflow 0
		.amdhsa_exception_fp_ieee_underflow 0
		.amdhsa_exception_fp_ieee_inexact 0
		.amdhsa_exception_int_div_zero 0
	.end_amdhsa_kernel
	.section	.text._ZL26rocblas_haxpy_mlt_8_kernelILi256EDF16_PKPKDF16_PKPDF16_EviT0_lT1_llT2_lli,"axG",@progbits,_ZL26rocblas_haxpy_mlt_8_kernelILi256EDF16_PKPKDF16_PKPDF16_EviT0_lT1_llT2_lli,comdat
.Lfunc_end62:
	.size	_ZL26rocblas_haxpy_mlt_8_kernelILi256EDF16_PKPKDF16_PKPDF16_EviT0_lT1_llT2_lli, .Lfunc_end62-_ZL26rocblas_haxpy_mlt_8_kernelILi256EDF16_PKPKDF16_PKPDF16_EviT0_lT1_llT2_lli
                                        ; -- End function
	.section	.AMDGPU.csdata,"",@progbits
; Kernel info:
; codeLenInByte = 284
; NumSgprs: 18
; NumVgprs: 10
; ScratchSize: 0
; MemoryBound: 0
; FloatMode: 240
; IeeeMode: 1
; LDSByteSize: 0 bytes/workgroup (compile time only)
; SGPRBlocks: 2
; VGPRBlocks: 1
; NumSGPRsForWavesPerEU: 18
; NumVGPRsForWavesPerEU: 10
; Occupancy: 16
; WaveLimiterHint : 1
; COMPUTE_PGM_RSRC2:SCRATCH_EN: 0
; COMPUTE_PGM_RSRC2:USER_SGPR: 14
; COMPUTE_PGM_RSRC2:TRAP_HANDLER: 0
; COMPUTE_PGM_RSRC2:TGID_X_EN: 1
; COMPUTE_PGM_RSRC2:TGID_Y_EN: 0
; COMPUTE_PGM_RSRC2:TGID_Z_EN: 1
; COMPUTE_PGM_RSRC2:TIDIG_COMP_CNT: 0
	.section	.text._ZL26rocblas_haxpy_mod_8_kernelILi256EDF16_PKPKDF16_PKPDF16_EviT0_lT1_llT2_lli,"axG",@progbits,_ZL26rocblas_haxpy_mod_8_kernelILi256EDF16_PKPKDF16_PKPDF16_EviT0_lT1_llT2_lli,comdat
	.globl	_ZL26rocblas_haxpy_mod_8_kernelILi256EDF16_PKPKDF16_PKPDF16_EviT0_lT1_llT2_lli ; -- Begin function _ZL26rocblas_haxpy_mod_8_kernelILi256EDF16_PKPKDF16_PKPDF16_EviT0_lT1_llT2_lli
	.p2align	8
	.type	_ZL26rocblas_haxpy_mod_8_kernelILi256EDF16_PKPKDF16_PKPDF16_EviT0_lT1_llT2_lli,@function
_ZL26rocblas_haxpy_mod_8_kernelILi256EDF16_PKPKDF16_PKPDF16_EviT0_lT1_llT2_lli: ; @_ZL26rocblas_haxpy_mod_8_kernelILi256EDF16_PKPKDF16_PKPDF16_EviT0_lT1_llT2_lli
; %bb.0:
	s_load_b64 s[2:3], s[0:1], 0x0
	v_mov_b32_e32 v1, 0
	v_lshl_or_b32 v0, s14, 8, v0
	s_mov_b32 s5, 0
	s_waitcnt lgkmcnt(0)
	s_ashr_i32 s7, s2, 31
	s_mov_b32 s6, s2
	v_cmp_neq_f16_e64 s2, s3, 0
	v_cmp_gt_i64_e32 vcc_lo, s[6:7], v[0:1]
	s_delay_alu instid0(VALU_DEP_2) | instskip(NEXT) | instid1(SALU_CYCLE_1)
	s_and_b32 s2, s2, vcc_lo
	s_and_saveexec_b32 s6, s2
	s_cbranch_execz .LBB63_2
; %bb.1:
	s_load_b128 s[8:11], s[0:1], 0x10
	s_mov_b32 s4, s15
	v_lshlrev_b64 v[0:1], 1, v[0:1]
	s_lshl_b64 s[12:13], s[4:5], 3
	s_load_b128 s[4:7], s[0:1], 0x28
	s_waitcnt lgkmcnt(0)
	s_add_u32 s0, s8, s12
	s_addc_u32 s1, s9, s13
	s_lshl_b64 s[8:9], s[10:11], 1
	s_load_b64 s[0:1], s[0:1], 0x0
	s_waitcnt lgkmcnt(0)
	s_add_u32 s2, s8, s0
	s_addc_u32 s8, s9, s1
	s_add_u32 s0, s4, s12
	s_addc_u32 s1, s5, s13
	s_lshl_b64 s[4:5], s[6:7], 1
	s_load_b64 s[0:1], s[0:1], 0x0
	v_add_co_u32 v2, vcc_lo, s2, v0
	v_add_co_ci_u32_e32 v3, vcc_lo, s8, v1, vcc_lo
	s_waitcnt lgkmcnt(0)
	s_add_u32 s0, s4, s0
	s_addc_u32 s1, s5, s1
	v_add_co_u32 v0, vcc_lo, s0, v0
	v_add_co_ci_u32_e32 v1, vcc_lo, s1, v1, vcc_lo
	global_load_u16 v2, v[2:3], off
	global_load_u16 v3, v[0:1], off
	s_waitcnt vmcnt(0)
	v_fmac_f16_e32 v3, s3, v2
	global_store_b16 v[0:1], v3, off
.LBB63_2:
	s_nop 0
	s_sendmsg sendmsg(MSG_DEALLOC_VGPRS)
	s_endpgm
	.section	.rodata,"a",@progbits
	.p2align	6, 0x0
	.amdhsa_kernel _ZL26rocblas_haxpy_mod_8_kernelILi256EDF16_PKPKDF16_PKPDF16_EviT0_lT1_llT2_lli
		.amdhsa_group_segment_fixed_size 0
		.amdhsa_private_segment_fixed_size 0
		.amdhsa_kernarg_size 68
		.amdhsa_user_sgpr_count 14
		.amdhsa_user_sgpr_dispatch_ptr 0
		.amdhsa_user_sgpr_queue_ptr 0
		.amdhsa_user_sgpr_kernarg_segment_ptr 1
		.amdhsa_user_sgpr_dispatch_id 0
		.amdhsa_user_sgpr_private_segment_size 0
		.amdhsa_wavefront_size32 1
		.amdhsa_uses_dynamic_stack 0
		.amdhsa_enable_private_segment 0
		.amdhsa_system_sgpr_workgroup_id_x 1
		.amdhsa_system_sgpr_workgroup_id_y 0
		.amdhsa_system_sgpr_workgroup_id_z 1
		.amdhsa_system_sgpr_workgroup_info 0
		.amdhsa_system_vgpr_workitem_id 0
		.amdhsa_next_free_vgpr 4
		.amdhsa_next_free_sgpr 16
		.amdhsa_reserve_vcc 1
		.amdhsa_float_round_mode_32 0
		.amdhsa_float_round_mode_16_64 0
		.amdhsa_float_denorm_mode_32 3
		.amdhsa_float_denorm_mode_16_64 3
		.amdhsa_dx10_clamp 1
		.amdhsa_ieee_mode 1
		.amdhsa_fp16_overflow 0
		.amdhsa_workgroup_processor_mode 1
		.amdhsa_memory_ordered 1
		.amdhsa_forward_progress 0
		.amdhsa_shared_vgpr_count 0
		.amdhsa_exception_fp_ieee_invalid_op 0
		.amdhsa_exception_fp_denorm_src 0
		.amdhsa_exception_fp_ieee_div_zero 0
		.amdhsa_exception_fp_ieee_overflow 0
		.amdhsa_exception_fp_ieee_underflow 0
		.amdhsa_exception_fp_ieee_inexact 0
		.amdhsa_exception_int_div_zero 0
	.end_amdhsa_kernel
	.section	.text._ZL26rocblas_haxpy_mod_8_kernelILi256EDF16_PKPKDF16_PKPDF16_EviT0_lT1_llT2_lli,"axG",@progbits,_ZL26rocblas_haxpy_mod_8_kernelILi256EDF16_PKPKDF16_PKPDF16_EviT0_lT1_llT2_lli,comdat
.Lfunc_end63:
	.size	_ZL26rocblas_haxpy_mod_8_kernelILi256EDF16_PKPKDF16_PKPDF16_EviT0_lT1_llT2_lli, .Lfunc_end63-_ZL26rocblas_haxpy_mod_8_kernelILi256EDF16_PKPKDF16_PKPDF16_EviT0_lT1_llT2_lli
                                        ; -- End function
	.section	.AMDGPU.csdata,"",@progbits
; Kernel info:
; codeLenInByte = 232
; NumSgprs: 18
; NumVgprs: 4
; ScratchSize: 0
; MemoryBound: 0
; FloatMode: 240
; IeeeMode: 1
; LDSByteSize: 0 bytes/workgroup (compile time only)
; SGPRBlocks: 2
; VGPRBlocks: 0
; NumSGPRsForWavesPerEU: 18
; NumVGPRsForWavesPerEU: 4
; Occupancy: 16
; WaveLimiterHint : 1
; COMPUTE_PGM_RSRC2:SCRATCH_EN: 0
; COMPUTE_PGM_RSRC2:USER_SGPR: 14
; COMPUTE_PGM_RSRC2:TRAP_HANDLER: 0
; COMPUTE_PGM_RSRC2:TGID_X_EN: 1
; COMPUTE_PGM_RSRC2:TGID_Y_EN: 0
; COMPUTE_PGM_RSRC2:TGID_Z_EN: 1
; COMPUTE_PGM_RSRC2:TIDIG_COMP_CNT: 0
	.section	.text._ZL22rocblas_saxpy_2_kernelILi256EDF16_PKDF16_PKS1_PKPDF16_EviT1_lT2_llT3_lli,"axG",@progbits,_ZL22rocblas_saxpy_2_kernelILi256EDF16_PKDF16_PKS1_PKPDF16_EviT1_lT2_llT3_lli,comdat
	.globl	_ZL22rocblas_saxpy_2_kernelILi256EDF16_PKDF16_PKS1_PKPDF16_EviT1_lT2_llT3_lli ; -- Begin function _ZL22rocblas_saxpy_2_kernelILi256EDF16_PKDF16_PKS1_PKPDF16_EviT1_lT2_llT3_lli
	.p2align	8
	.type	_ZL22rocblas_saxpy_2_kernelILi256EDF16_PKDF16_PKS1_PKPDF16_EviT1_lT2_llT3_lli,@function
_ZL22rocblas_saxpy_2_kernelILi256EDF16_PKDF16_PKS1_PKPDF16_EviT1_lT2_llT3_lli: ; @_ZL22rocblas_saxpy_2_kernelILi256EDF16_PKDF16_PKS1_PKPDF16_EviT1_lT2_llT3_lli
; %bb.0:
	s_load_b128 s[4:7], s[0:1], 0x8
	v_mov_b32_e32 v1, 0
	s_waitcnt lgkmcnt(0)
	s_mul_i32 s3, s15, s7
	s_mul_hi_u32 s7, s15, s6
	s_mul_i32 s6, s15, s6
	s_add_i32 s7, s7, s3
	s_mov_b32 s3, 0
	s_lshl_b64 s[6:7], s[6:7], 1
	s_delay_alu instid0(SALU_CYCLE_1)
	s_add_u32 s4, s4, s6
	s_addc_u32 s5, s5, s7
	global_load_u16 v4, v1, s[4:5]
	s_waitcnt vmcnt(0)
	v_cmp_eq_f16_e32 vcc_lo, 0, v4
	s_cbranch_vccnz .LBB64_5
; %bb.1:
	s_clause 0x1
	s_load_b128 s[8:11], s[0:1], 0x18
	s_load_b32 s4, s[0:1], 0x0
	s_mov_b32 s2, s15
	v_lshlrev_b32_e32 v0, 1, v0
	s_lshl_b64 s[6:7], s[2:3], 3
	s_delay_alu instid0(VALU_DEP_1) | instskip(NEXT) | instid1(VALU_DEP_1)
	v_lshl_or_b32 v0, s14, 9, v0
	v_lshlrev_b64 v[2:3], 1, v[0:1]
	s_waitcnt lgkmcnt(0)
	s_add_u32 s2, s8, s6
	s_addc_u32 s3, s9, s7
	s_load_b64 s[2:3], s[2:3], 0x0
	s_load_b128 s[16:19], s[0:1], 0x30
	s_lshl_b64 s[0:1], s[10:11], 1
	s_waitcnt lgkmcnt(0)
	s_add_u32 s2, s2, s0
	s_addc_u32 s3, s3, s1
	s_add_u32 s0, s16, s6
	s_addc_u32 s1, s17, s7
	s_lshl_b64 s[6:7], s[18:19], 1
	s_load_b64 s[0:1], s[0:1], 0x0
	s_waitcnt lgkmcnt(0)
	s_add_u32 s5, s0, s6
	s_addc_u32 s6, s1, s7
	s_add_i32 s0, s4, -1
	s_mov_b32 s7, exec_lo
	s_ashr_i32 s1, s0, 31
	s_delay_alu instid0(SALU_CYCLE_1)
	v_cmpx_gt_i64_e64 s[0:1], v[0:1]
	s_cbranch_execz .LBB64_3
; %bb.2:
	v_add_co_u32 v5, vcc_lo, s5, v2
	v_add_co_ci_u32_e32 v6, vcc_lo, s6, v3, vcc_lo
	v_add_co_u32 v7, vcc_lo, s2, v2
	v_add_co_ci_u32_e32 v8, vcc_lo, s3, v3, vcc_lo
	global_load_b32 v9, v[5:6], off
	global_load_u16 v10, v[7:8], off
	s_waitcnt vmcnt(1)
	v_lshrrev_b32_e32 v11, 16, v9
	s_waitcnt vmcnt(0)
	v_fmac_f16_e32 v9, v4, v10
	global_store_b16 v[5:6], v9, off
	global_load_u16 v7, v[7:8], off offset:2
	s_waitcnt vmcnt(0)
	v_fmac_f16_e32 v11, v4, v7
	global_store_b16 v[5:6], v11, off offset:2
.LBB64_3:
	s_or_b32 exec_lo, exec_lo, s7
	v_cmp_eq_u64_e32 vcc_lo, s[0:1], v[0:1]
	s_bitcmp1_b32 s4, 0
	s_cselect_b32 s0, -1, 0
	s_delay_alu instid0(SALU_CYCLE_1) | instskip(NEXT) | instid1(SALU_CYCLE_1)
	s_and_b32 s0, s0, vcc_lo
	s_and_saveexec_b32 s1, s0
	s_cbranch_execz .LBB64_5
; %bb.4:
	v_add_co_u32 v0, vcc_lo, s5, v2
	v_add_co_ci_u32_e32 v1, vcc_lo, s6, v3, vcc_lo
	v_add_co_u32 v2, vcc_lo, s2, v2
	v_add_co_ci_u32_e32 v3, vcc_lo, s3, v3, vcc_lo
	global_load_u16 v5, v[0:1], off
	global_load_u16 v2, v[2:3], off
	s_waitcnt vmcnt(0)
	v_fmac_f16_e32 v5, v4, v2
	global_store_b16 v[0:1], v5, off
.LBB64_5:
	s_nop 0
	s_sendmsg sendmsg(MSG_DEALLOC_VGPRS)
	s_endpgm
	.section	.rodata,"a",@progbits
	.p2align	6, 0x0
	.amdhsa_kernel _ZL22rocblas_saxpy_2_kernelILi256EDF16_PKDF16_PKS1_PKPDF16_EviT1_lT2_llT3_lli
		.amdhsa_group_segment_fixed_size 0
		.amdhsa_private_segment_fixed_size 0
		.amdhsa_kernarg_size 76
		.amdhsa_user_sgpr_count 14
		.amdhsa_user_sgpr_dispatch_ptr 0
		.amdhsa_user_sgpr_queue_ptr 0
		.amdhsa_user_sgpr_kernarg_segment_ptr 1
		.amdhsa_user_sgpr_dispatch_id 0
		.amdhsa_user_sgpr_private_segment_size 0
		.amdhsa_wavefront_size32 1
		.amdhsa_uses_dynamic_stack 0
		.amdhsa_enable_private_segment 0
		.amdhsa_system_sgpr_workgroup_id_x 1
		.amdhsa_system_sgpr_workgroup_id_y 0
		.amdhsa_system_sgpr_workgroup_id_z 1
		.amdhsa_system_sgpr_workgroup_info 0
		.amdhsa_system_vgpr_workitem_id 0
		.amdhsa_next_free_vgpr 12
		.amdhsa_next_free_sgpr 20
		.amdhsa_reserve_vcc 1
		.amdhsa_float_round_mode_32 0
		.amdhsa_float_round_mode_16_64 0
		.amdhsa_float_denorm_mode_32 3
		.amdhsa_float_denorm_mode_16_64 3
		.amdhsa_dx10_clamp 1
		.amdhsa_ieee_mode 1
		.amdhsa_fp16_overflow 0
		.amdhsa_workgroup_processor_mode 1
		.amdhsa_memory_ordered 1
		.amdhsa_forward_progress 0
		.amdhsa_shared_vgpr_count 0
		.amdhsa_exception_fp_ieee_invalid_op 0
		.amdhsa_exception_fp_denorm_src 0
		.amdhsa_exception_fp_ieee_div_zero 0
		.amdhsa_exception_fp_ieee_overflow 0
		.amdhsa_exception_fp_ieee_underflow 0
		.amdhsa_exception_fp_ieee_inexact 0
		.amdhsa_exception_int_div_zero 0
	.end_amdhsa_kernel
	.section	.text._ZL22rocblas_saxpy_2_kernelILi256EDF16_PKDF16_PKS1_PKPDF16_EviT1_lT2_llT3_lli,"axG",@progbits,_ZL22rocblas_saxpy_2_kernelILi256EDF16_PKDF16_PKS1_PKPDF16_EviT1_lT2_llT3_lli,comdat
.Lfunc_end64:
	.size	_ZL22rocblas_saxpy_2_kernelILi256EDF16_PKDF16_PKS1_PKPDF16_EviT1_lT2_llT3_lli, .Lfunc_end64-_ZL22rocblas_saxpy_2_kernelILi256EDF16_PKDF16_PKS1_PKPDF16_EviT1_lT2_llT3_lli
                                        ; -- End function
	.section	.AMDGPU.csdata,"",@progbits
; Kernel info:
; codeLenInByte = 416
; NumSgprs: 22
; NumVgprs: 12
; ScratchSize: 0
; MemoryBound: 0
; FloatMode: 240
; IeeeMode: 1
; LDSByteSize: 0 bytes/workgroup (compile time only)
; SGPRBlocks: 2
; VGPRBlocks: 1
; NumSGPRsForWavesPerEU: 22
; NumVGPRsForWavesPerEU: 12
; Occupancy: 16
; WaveLimiterHint : 1
; COMPUTE_PGM_RSRC2:SCRATCH_EN: 0
; COMPUTE_PGM_RSRC2:USER_SGPR: 14
; COMPUTE_PGM_RSRC2:TRAP_HANDLER: 0
; COMPUTE_PGM_RSRC2:TGID_X_EN: 1
; COMPUTE_PGM_RSRC2:TGID_Y_EN: 0
; COMPUTE_PGM_RSRC2:TGID_Z_EN: 1
; COMPUTE_PGM_RSRC2:TIDIG_COMP_CNT: 0
	.section	.text._ZL22rocblas_saxpy_2_kernelILi256EDF16_DF16_PKPKDF16_PKPDF16_EviT1_lT2_llT3_lli,"axG",@progbits,_ZL22rocblas_saxpy_2_kernelILi256EDF16_DF16_PKPKDF16_PKPDF16_EviT1_lT2_llT3_lli,comdat
	.globl	_ZL22rocblas_saxpy_2_kernelILi256EDF16_DF16_PKPKDF16_PKPDF16_EviT1_lT2_llT3_lli ; -- Begin function _ZL22rocblas_saxpy_2_kernelILi256EDF16_DF16_PKPKDF16_PKPDF16_EviT1_lT2_llT3_lli
	.p2align	8
	.type	_ZL22rocblas_saxpy_2_kernelILi256EDF16_DF16_PKPKDF16_PKPDF16_EviT1_lT2_llT3_lli,@function
_ZL22rocblas_saxpy_2_kernelILi256EDF16_DF16_PKPKDF16_PKPDF16_EviT1_lT2_llT3_lli: ; @_ZL22rocblas_saxpy_2_kernelILi256EDF16_DF16_PKPKDF16_PKPDF16_EviT1_lT2_llT3_lli
; %bb.0:
	s_load_b64 s[2:3], s[0:1], 0x0
	s_waitcnt lgkmcnt(0)
	v_cmp_eq_f16_e64 s5, s3, 0
	s_delay_alu instid0(VALU_DEP_1)
	s_and_b32 vcc_lo, exec_lo, s5
	s_mov_b32 s5, 0
	s_cbranch_vccnz .LBB65_5
; %bb.1:
	s_clause 0x1
	s_load_b128 s[8:11], s[0:1], 0x10
	s_load_b128 s[16:19], s[0:1], 0x28
	s_mov_b32 s4, s15
	v_dual_mov_b32 v3, 0 :: v_dual_lshlrev_b32 v0, 1, v0
	s_lshl_b64 s[6:7], s[4:5], 3
	s_delay_alu instid0(VALU_DEP_1) | instskip(NEXT) | instid1(VALU_DEP_1)
	v_lshl_or_b32 v2, s14, 9, v0
	v_lshlrev_b64 v[0:1], 1, v[2:3]
	s_waitcnt lgkmcnt(0)
	s_add_u32 s0, s8, s6
	s_addc_u32 s1, s9, s7
	s_lshl_b64 s[4:5], s[10:11], 1
	s_load_b64 s[0:1], s[0:1], 0x0
	s_mov_b32 s8, exec_lo
	s_waitcnt lgkmcnt(0)
	s_add_u32 s4, s0, s4
	s_addc_u32 s5, s1, s5
	s_add_u32 s0, s16, s6
	s_addc_u32 s1, s17, s7
	s_lshl_b64 s[6:7], s[18:19], 1
	s_load_b64 s[0:1], s[0:1], 0x0
	s_waitcnt lgkmcnt(0)
	s_add_u32 s6, s0, s6
	s_addc_u32 s7, s1, s7
	s_add_i32 s0, s2, -1
	s_delay_alu instid0(SALU_CYCLE_1) | instskip(NEXT) | instid1(SALU_CYCLE_1)
	s_ashr_i32 s1, s0, 31
	v_cmpx_gt_i64_e64 s[0:1], v[2:3]
	s_cbranch_execz .LBB65_3
; %bb.2:
	v_add_co_u32 v4, vcc_lo, s6, v0
	v_add_co_ci_u32_e32 v5, vcc_lo, s7, v1, vcc_lo
	v_add_co_u32 v6, vcc_lo, s4, v0
	v_add_co_ci_u32_e32 v7, vcc_lo, s5, v1, vcc_lo
	global_load_b32 v8, v[4:5], off
	global_load_u16 v9, v[6:7], off
	s_waitcnt vmcnt(1)
	v_lshrrev_b32_e32 v10, 16, v8
	s_waitcnt vmcnt(0)
	v_fmac_f16_e32 v8, s3, v9
	global_store_b16 v[4:5], v8, off
	global_load_u16 v6, v[6:7], off offset:2
	s_waitcnt vmcnt(0)
	v_fmac_f16_e32 v10, s3, v6
	global_store_b16 v[4:5], v10, off offset:2
.LBB65_3:
	s_or_b32 exec_lo, exec_lo, s8
	v_cmp_eq_u64_e32 vcc_lo, s[0:1], v[2:3]
	s_bitcmp1_b32 s2, 0
	s_cselect_b32 s0, -1, 0
	s_delay_alu instid0(SALU_CYCLE_1) | instskip(NEXT) | instid1(SALU_CYCLE_1)
	s_and_b32 s0, s0, vcc_lo
	s_and_saveexec_b32 s1, s0
	s_cbranch_execz .LBB65_5
; %bb.4:
	v_add_co_u32 v2, vcc_lo, s6, v0
	v_add_co_ci_u32_e32 v3, vcc_lo, s7, v1, vcc_lo
	v_add_co_u32 v0, vcc_lo, s4, v0
	v_add_co_ci_u32_e32 v1, vcc_lo, s5, v1, vcc_lo
	global_load_u16 v4, v[2:3], off
	global_load_u16 v0, v[0:1], off
	s_waitcnt vmcnt(0)
	v_fmac_f16_e32 v4, s3, v0
	global_store_b16 v[2:3], v4, off
.LBB65_5:
	s_nop 0
	s_sendmsg sendmsg(MSG_DEALLOC_VGPRS)
	s_endpgm
	.section	.rodata,"a",@progbits
	.p2align	6, 0x0
	.amdhsa_kernel _ZL22rocblas_saxpy_2_kernelILi256EDF16_DF16_PKPKDF16_PKPDF16_EviT1_lT2_llT3_lli
		.amdhsa_group_segment_fixed_size 0
		.amdhsa_private_segment_fixed_size 0
		.amdhsa_kernarg_size 68
		.amdhsa_user_sgpr_count 14
		.amdhsa_user_sgpr_dispatch_ptr 0
		.amdhsa_user_sgpr_queue_ptr 0
		.amdhsa_user_sgpr_kernarg_segment_ptr 1
		.amdhsa_user_sgpr_dispatch_id 0
		.amdhsa_user_sgpr_private_segment_size 0
		.amdhsa_wavefront_size32 1
		.amdhsa_uses_dynamic_stack 0
		.amdhsa_enable_private_segment 0
		.amdhsa_system_sgpr_workgroup_id_x 1
		.amdhsa_system_sgpr_workgroup_id_y 0
		.amdhsa_system_sgpr_workgroup_id_z 1
		.amdhsa_system_sgpr_workgroup_info 0
		.amdhsa_system_vgpr_workitem_id 0
		.amdhsa_next_free_vgpr 11
		.amdhsa_next_free_sgpr 20
		.amdhsa_reserve_vcc 1
		.amdhsa_float_round_mode_32 0
		.amdhsa_float_round_mode_16_64 0
		.amdhsa_float_denorm_mode_32 3
		.amdhsa_float_denorm_mode_16_64 3
		.amdhsa_dx10_clamp 1
		.amdhsa_ieee_mode 1
		.amdhsa_fp16_overflow 0
		.amdhsa_workgroup_processor_mode 1
		.amdhsa_memory_ordered 1
		.amdhsa_forward_progress 0
		.amdhsa_shared_vgpr_count 0
		.amdhsa_exception_fp_ieee_invalid_op 0
		.amdhsa_exception_fp_denorm_src 0
		.amdhsa_exception_fp_ieee_div_zero 0
		.amdhsa_exception_fp_ieee_overflow 0
		.amdhsa_exception_fp_ieee_underflow 0
		.amdhsa_exception_fp_ieee_inexact 0
		.amdhsa_exception_int_div_zero 0
	.end_amdhsa_kernel
	.section	.text._ZL22rocblas_saxpy_2_kernelILi256EDF16_DF16_PKPKDF16_PKPDF16_EviT1_lT2_llT3_lli,"axG",@progbits,_ZL22rocblas_saxpy_2_kernelILi256EDF16_DF16_PKPKDF16_PKPDF16_EviT1_lT2_llT3_lli,comdat
.Lfunc_end65:
	.size	_ZL22rocblas_saxpy_2_kernelILi256EDF16_DF16_PKPKDF16_PKPDF16_EviT1_lT2_llT3_lli, .Lfunc_end65-_ZL22rocblas_saxpy_2_kernelILi256EDF16_DF16_PKPKDF16_PKPDF16_EviT1_lT2_llT3_lli
                                        ; -- End function
	.section	.AMDGPU.csdata,"",@progbits
; Kernel info:
; codeLenInByte = 376
; NumSgprs: 22
; NumVgprs: 11
; ScratchSize: 0
; MemoryBound: 0
; FloatMode: 240
; IeeeMode: 1
; LDSByteSize: 0 bytes/workgroup (compile time only)
; SGPRBlocks: 2
; VGPRBlocks: 1
; NumSGPRsForWavesPerEU: 22
; NumVGPRsForWavesPerEU: 11
; Occupancy: 16
; WaveLimiterHint : 1
; COMPUTE_PGM_RSRC2:SCRATCH_EN: 0
; COMPUTE_PGM_RSRC2:USER_SGPR: 14
; COMPUTE_PGM_RSRC2:TRAP_HANDLER: 0
; COMPUTE_PGM_RSRC2:TGID_X_EN: 1
; COMPUTE_PGM_RSRC2:TGID_Y_EN: 0
; COMPUTE_PGM_RSRC2:TGID_Z_EN: 1
; COMPUTE_PGM_RSRC2:TIDIG_COMP_CNT: 0
	.section	.text._ZL27rocblas_axpy_kernel_batchedIiLi128ELi8EDF16_PKDF16_PKS1_PKPDF16_EviT3_lT4_lT_lT5_lS9_li,"axG",@progbits,_ZL27rocblas_axpy_kernel_batchedIiLi128ELi8EDF16_PKDF16_PKS1_PKPDF16_EviT3_lT4_lT_lT5_lS9_li,comdat
	.globl	_ZL27rocblas_axpy_kernel_batchedIiLi128ELi8EDF16_PKDF16_PKS1_PKPDF16_EviT3_lT4_lT_lT5_lS9_li ; -- Begin function _ZL27rocblas_axpy_kernel_batchedIiLi128ELi8EDF16_PKDF16_PKS1_PKPDF16_EviT3_lT4_lT_lT5_lS9_li
	.p2align	8
	.type	_ZL27rocblas_axpy_kernel_batchedIiLi128ELi8EDF16_PKDF16_PKS1_PKPDF16_EviT3_lT4_lT_lT5_lS9_li,@function
_ZL27rocblas_axpy_kernel_batchedIiLi128ELi8EDF16_PKDF16_PKS1_PKPDF16_EviT3_lT4_lT_lT5_lS9_li: ; @_ZL27rocblas_axpy_kernel_batchedIiLi128ELi8EDF16_PKDF16_PKS1_PKPDF16_EviT3_lT4_lT_lT5_lS9_li
; %bb.0:
	s_load_b32 s2, s[0:1], 0x0
	v_dual_mov_b32 v6, 0 :: v_dual_and_b32 v1, 0x3ff, v0
	s_delay_alu instid0(VALU_DEP_1)
	v_lshl_add_u32 v5, s14, 7, v1
	s_waitcnt lgkmcnt(0)
	s_ashr_i32 s3, s2, 31
	s_delay_alu instid0(VALU_DEP_1) | instid1(SALU_CYCLE_1)
	v_cmp_gt_i64_e32 vcc_lo, s[2:3], v[5:6]
	s_and_saveexec_b32 s2, vcc_lo
	s_cbranch_execz .LBB66_13
; %bb.1:
	s_clause 0x3
	s_load_b32 s13, s[0:1], 0x28
	s_load_b32 s14, s[0:1], 0x48
	s_load_b128 s[8:11], s[0:1], 0x38
	s_load_b32 s12, s[0:1], 0x58
	v_bfe_u32 v0, v0, 10, 10
	s_load_b256 s[0:7], s[0:1], 0x8
	s_waitcnt lgkmcnt(0)
	v_mad_u64_u32 v[1:2], null, s13, v5, 0
	v_mad_u64_u32 v[3:4], null, s14, v5, 0
	v_lshlrev_b32_e32 v9, 2, v0
	s_ashr_i32 s13, s13, 31
	s_ashr_i32 s14, s14, 31
	s_delay_alu instid0(VALU_DEP_3) | instskip(NEXT) | instid1(VALU_DEP_3)
	v_mov_b32_e32 v0, v2
	v_mov_b32_e32 v2, v4
	s_delay_alu instid0(VALU_DEP_2) | instskip(NEXT) | instid1(VALU_DEP_2)
	v_mad_u64_u32 v[6:7], null, s13, v5, v[0:1]
	v_mad_u64_u32 v[7:8], null, s14, v5, v[2:3]
	v_lshl_add_u32 v5, s15, 5, v9
	s_mov_b32 s13, exec_lo
	s_delay_alu instid0(VALU_DEP_3) | instskip(NEXT) | instid1(VALU_DEP_3)
	v_mov_b32_e32 v2, v6
	v_mov_b32_e32 v4, v7
	s_delay_alu instid0(VALU_DEP_3)
	v_cmpx_gt_u32_e64 s12, v5
	s_cbranch_execz .LBB66_4
; %bb.2:
	v_mad_u64_u32 v[6:7], null, v5, s2, 0
	s_delay_alu instid0(VALU_DEP_1) | instskip(NEXT) | instid1(VALU_DEP_1)
	v_mov_b32_e32 v0, v7
	v_mad_u64_u32 v[7:8], null, v5, s3, v[0:1]
	s_delay_alu instid0(VALU_DEP_1) | instskip(NEXT) | instid1(VALU_DEP_1)
	v_lshlrev_b64 v[6:7], 1, v[6:7]
	v_add_co_u32 v6, vcc_lo, s0, v6
	s_delay_alu instid0(VALU_DEP_2)
	v_add_co_ci_u32_e32 v7, vcc_lo, s1, v7, vcc_lo
	global_load_u16 v0, v[6:7], off
	s_waitcnt vmcnt(0)
	v_cmp_neq_f16_e32 vcc_lo, 0, v0
	s_and_b32 exec_lo, exec_lo, vcc_lo
	s_cbranch_execz .LBB66_4
; %bb.3:
	v_mov_b32_e32 v6, 0
	v_lshlrev_b64 v[10:11], 1, v[3:4]
	v_lshlrev_b64 v[12:13], 1, v[1:2]
	s_lshl_b64 s[16:17], s[10:11], 1
	s_lshl_b64 s[14:15], s[6:7], 1
	v_lshlrev_b64 v[6:7], 3, v[5:6]
	s_delay_alu instid0(VALU_DEP_1) | instskip(NEXT) | instid1(VALU_DEP_2)
	v_add_co_u32 v8, vcc_lo, s8, v6
	v_add_co_ci_u32_e32 v9, vcc_lo, s9, v7, vcc_lo
	v_add_co_u32 v6, vcc_lo, s4, v6
	v_add_co_ci_u32_e32 v7, vcc_lo, s5, v7, vcc_lo
	global_load_b64 v[8:9], v[8:9], off
	global_load_b64 v[6:7], v[6:7], off
	s_waitcnt vmcnt(1)
	v_add_co_u32 v8, vcc_lo, v8, v10
	v_add_co_ci_u32_e32 v9, vcc_lo, v9, v11, vcc_lo
	s_waitcnt vmcnt(0)
	v_add_co_u32 v10, vcc_lo, v6, v12
	v_add_co_ci_u32_e32 v11, vcc_lo, v7, v13, vcc_lo
	v_add_co_u32 v6, vcc_lo, v8, s16
	v_add_co_ci_u32_e32 v7, vcc_lo, s17, v9, vcc_lo
	s_delay_alu instid0(VALU_DEP_4) | instskip(NEXT) | instid1(VALU_DEP_4)
	v_add_co_u32 v8, vcc_lo, v10, s14
	v_add_co_ci_u32_e32 v9, vcc_lo, s15, v11, vcc_lo
	global_load_u16 v10, v[6:7], off
	global_load_u16 v8, v[8:9], off
	s_waitcnt vmcnt(0)
	v_fmac_f16_e32 v10, v0, v8
	global_store_b16 v[6:7], v10, off
.LBB66_4:
	s_or_b32 exec_lo, exec_lo, s13
	v_or_b32_e32 v0, 1, v5
	s_mov_b32 s13, exec_lo
	s_delay_alu instid0(VALU_DEP_1)
	v_cmpx_gt_u32_e64 s12, v0
	s_cbranch_execz .LBB66_7
; %bb.5:
	v_mad_u64_u32 v[6:7], null, v0, s2, 0
	s_delay_alu instid0(VALU_DEP_1) | instskip(NEXT) | instid1(VALU_DEP_1)
	v_mad_u64_u32 v[8:9], null, v0, s3, v[7:8]
	v_mov_b32_e32 v7, v8
	s_delay_alu instid0(VALU_DEP_1) | instskip(NEXT) | instid1(VALU_DEP_1)
	v_lshlrev_b64 v[6:7], 1, v[6:7]
	v_add_co_u32 v6, vcc_lo, s0, v6
	s_delay_alu instid0(VALU_DEP_2)
	v_add_co_ci_u32_e32 v7, vcc_lo, s1, v7, vcc_lo
	global_load_u16 v0, v[6:7], off
	s_waitcnt vmcnt(0)
	v_cmp_neq_f16_e32 vcc_lo, 0, v0
	s_and_b32 exec_lo, exec_lo, vcc_lo
	s_cbranch_execz .LBB66_7
; %bb.6:
	v_mov_b32_e32 v6, 0
	v_lshlrev_b64 v[10:11], 1, v[3:4]
	v_lshlrev_b64 v[12:13], 1, v[1:2]
	s_lshl_b64 s[16:17], s[10:11], 1
	s_lshl_b64 s[14:15], s[6:7], 1
	v_lshlrev_b64 v[6:7], 3, v[5:6]
	s_delay_alu instid0(VALU_DEP_1) | instskip(NEXT) | instid1(VALU_DEP_2)
	v_add_co_u32 v8, vcc_lo, s8, v6
	v_add_co_ci_u32_e32 v9, vcc_lo, s9, v7, vcc_lo
	v_add_co_u32 v6, vcc_lo, s4, v6
	v_add_co_ci_u32_e32 v7, vcc_lo, s5, v7, vcc_lo
	global_load_b64 v[8:9], v[8:9], off offset:8
	global_load_b64 v[6:7], v[6:7], off offset:8
	s_waitcnt vmcnt(1)
	v_add_co_u32 v8, vcc_lo, v8, v10
	v_add_co_ci_u32_e32 v9, vcc_lo, v9, v11, vcc_lo
	s_waitcnt vmcnt(0)
	v_add_co_u32 v10, vcc_lo, v6, v12
	v_add_co_ci_u32_e32 v11, vcc_lo, v7, v13, vcc_lo
	v_add_co_u32 v6, vcc_lo, v8, s16
	v_add_co_ci_u32_e32 v7, vcc_lo, s17, v9, vcc_lo
	s_delay_alu instid0(VALU_DEP_4) | instskip(NEXT) | instid1(VALU_DEP_4)
	v_add_co_u32 v8, vcc_lo, v10, s14
	v_add_co_ci_u32_e32 v9, vcc_lo, s15, v11, vcc_lo
	global_load_u16 v10, v[6:7], off
	global_load_u16 v8, v[8:9], off
	s_waitcnt vmcnt(0)
	v_fmac_f16_e32 v10, v0, v8
	global_store_b16 v[6:7], v10, off
.LBB66_7:
	s_or_b32 exec_lo, exec_lo, s13
	v_or_b32_e32 v0, 2, v5
	s_mov_b32 s13, exec_lo
	s_delay_alu instid0(VALU_DEP_1)
	v_cmpx_gt_u32_e64 s12, v0
	s_cbranch_execz .LBB66_10
; %bb.8:
	v_mad_u64_u32 v[6:7], null, v0, s2, 0
	s_delay_alu instid0(VALU_DEP_1) | instskip(NEXT) | instid1(VALU_DEP_1)
	v_mad_u64_u32 v[8:9], null, v0, s3, v[7:8]
	v_mov_b32_e32 v7, v8
	s_delay_alu instid0(VALU_DEP_1) | instskip(NEXT) | instid1(VALU_DEP_1)
	v_lshlrev_b64 v[6:7], 1, v[6:7]
	v_add_co_u32 v6, vcc_lo, s0, v6
	s_delay_alu instid0(VALU_DEP_2)
	v_add_co_ci_u32_e32 v7, vcc_lo, s1, v7, vcc_lo
	global_load_u16 v0, v[6:7], off
	s_waitcnt vmcnt(0)
	v_cmp_neq_f16_e32 vcc_lo, 0, v0
	s_and_b32 exec_lo, exec_lo, vcc_lo
	s_cbranch_execz .LBB66_10
; %bb.9:
	v_mov_b32_e32 v6, 0
	v_lshlrev_b64 v[10:11], 1, v[3:4]
	v_lshlrev_b64 v[12:13], 1, v[1:2]
	s_lshl_b64 s[16:17], s[10:11], 1
	s_lshl_b64 s[14:15], s[6:7], 1
	v_lshlrev_b64 v[6:7], 3, v[5:6]
	s_delay_alu instid0(VALU_DEP_1) | instskip(NEXT) | instid1(VALU_DEP_2)
	v_add_co_u32 v8, vcc_lo, s8, v6
	v_add_co_ci_u32_e32 v9, vcc_lo, s9, v7, vcc_lo
	v_add_co_u32 v6, vcc_lo, s4, v6
	v_add_co_ci_u32_e32 v7, vcc_lo, s5, v7, vcc_lo
	global_load_b64 v[8:9], v[8:9], off offset:16
	global_load_b64 v[6:7], v[6:7], off offset:16
	s_waitcnt vmcnt(1)
	v_add_co_u32 v8, vcc_lo, v8, v10
	v_add_co_ci_u32_e32 v9, vcc_lo, v9, v11, vcc_lo
	s_waitcnt vmcnt(0)
	v_add_co_u32 v10, vcc_lo, v6, v12
	v_add_co_ci_u32_e32 v11, vcc_lo, v7, v13, vcc_lo
	v_add_co_u32 v6, vcc_lo, v8, s16
	v_add_co_ci_u32_e32 v7, vcc_lo, s17, v9, vcc_lo
	s_delay_alu instid0(VALU_DEP_4) | instskip(NEXT) | instid1(VALU_DEP_4)
	v_add_co_u32 v8, vcc_lo, v10, s14
	v_add_co_ci_u32_e32 v9, vcc_lo, s15, v11, vcc_lo
	global_load_u16 v10, v[6:7], off
	global_load_u16 v8, v[8:9], off
	s_waitcnt vmcnt(0)
	v_fmac_f16_e32 v10, v0, v8
	global_store_b16 v[6:7], v10, off
.LBB66_10:
	s_or_b32 exec_lo, exec_lo, s13
	v_or_b32_e32 v0, 3, v5
	s_delay_alu instid0(VALU_DEP_1)
	v_cmp_gt_u32_e32 vcc_lo, s12, v0
	s_and_b32 exec_lo, exec_lo, vcc_lo
	s_cbranch_execz .LBB66_13
; %bb.11:
	v_mad_u64_u32 v[6:7], null, v0, s2, 0
	s_delay_alu instid0(VALU_DEP_1) | instskip(NEXT) | instid1(VALU_DEP_1)
	v_mad_u64_u32 v[8:9], null, v0, s3, v[7:8]
	v_mov_b32_e32 v7, v8
	s_delay_alu instid0(VALU_DEP_1) | instskip(NEXT) | instid1(VALU_DEP_1)
	v_lshlrev_b64 v[6:7], 1, v[6:7]
	v_add_co_u32 v6, vcc_lo, s0, v6
	s_delay_alu instid0(VALU_DEP_2)
	v_add_co_ci_u32_e32 v7, vcc_lo, s1, v7, vcc_lo
	global_load_u16 v0, v[6:7], off
	s_waitcnt vmcnt(0)
	v_cmp_neq_f16_e32 vcc_lo, 0, v0
	s_and_b32 exec_lo, exec_lo, vcc_lo
	s_cbranch_execz .LBB66_13
; %bb.12:
	v_mov_b32_e32 v6, 0
	v_lshlrev_b64 v[3:4], 1, v[3:4]
	v_lshlrev_b64 v[1:2], 1, v[1:2]
	s_lshl_b64 s[2:3], s[10:11], 1
	s_lshl_b64 s[0:1], s[6:7], 1
	v_lshlrev_b64 v[5:6], 3, v[5:6]
	s_delay_alu instid0(VALU_DEP_1) | instskip(NEXT) | instid1(VALU_DEP_2)
	v_add_co_u32 v7, vcc_lo, s8, v5
	v_add_co_ci_u32_e32 v8, vcc_lo, s9, v6, vcc_lo
	v_add_co_u32 v5, vcc_lo, s4, v5
	v_add_co_ci_u32_e32 v6, vcc_lo, s5, v6, vcc_lo
	global_load_b64 v[7:8], v[7:8], off offset:24
	global_load_b64 v[5:6], v[5:6], off offset:24
	s_waitcnt vmcnt(1)
	v_add_co_u32 v3, vcc_lo, v7, v3
	v_add_co_ci_u32_e32 v4, vcc_lo, v8, v4, vcc_lo
	s_waitcnt vmcnt(0)
	v_add_co_u32 v5, vcc_lo, v5, v1
	v_add_co_ci_u32_e32 v6, vcc_lo, v6, v2, vcc_lo
	v_add_co_u32 v1, vcc_lo, v3, s2
	v_add_co_ci_u32_e32 v2, vcc_lo, s3, v4, vcc_lo
	s_delay_alu instid0(VALU_DEP_4) | instskip(NEXT) | instid1(VALU_DEP_4)
	v_add_co_u32 v3, vcc_lo, v5, s0
	v_add_co_ci_u32_e32 v4, vcc_lo, s1, v6, vcc_lo
	global_load_u16 v5, v[1:2], off
	global_load_u16 v3, v[3:4], off
	s_waitcnt vmcnt(0)
	v_fmac_f16_e32 v5, v0, v3
	global_store_b16 v[1:2], v5, off
.LBB66_13:
	s_nop 0
	s_sendmsg sendmsg(MSG_DEALLOC_VGPRS)
	s_endpgm
	.section	.rodata,"a",@progbits
	.p2align	6, 0x0
	.amdhsa_kernel _ZL27rocblas_axpy_kernel_batchedIiLi128ELi8EDF16_PKDF16_PKS1_PKPDF16_EviT3_lT4_lT_lT5_lS9_li
		.amdhsa_group_segment_fixed_size 0
		.amdhsa_private_segment_fixed_size 0
		.amdhsa_kernarg_size 92
		.amdhsa_user_sgpr_count 14
		.amdhsa_user_sgpr_dispatch_ptr 0
		.amdhsa_user_sgpr_queue_ptr 0
		.amdhsa_user_sgpr_kernarg_segment_ptr 1
		.amdhsa_user_sgpr_dispatch_id 0
		.amdhsa_user_sgpr_private_segment_size 0
		.amdhsa_wavefront_size32 1
		.amdhsa_uses_dynamic_stack 0
		.amdhsa_enable_private_segment 0
		.amdhsa_system_sgpr_workgroup_id_x 1
		.amdhsa_system_sgpr_workgroup_id_y 0
		.amdhsa_system_sgpr_workgroup_id_z 1
		.amdhsa_system_sgpr_workgroup_info 0
		.amdhsa_system_vgpr_workitem_id 1
		.amdhsa_next_free_vgpr 14
		.amdhsa_next_free_sgpr 18
		.amdhsa_reserve_vcc 1
		.amdhsa_float_round_mode_32 0
		.amdhsa_float_round_mode_16_64 0
		.amdhsa_float_denorm_mode_32 3
		.amdhsa_float_denorm_mode_16_64 3
		.amdhsa_dx10_clamp 1
		.amdhsa_ieee_mode 1
		.amdhsa_fp16_overflow 0
		.amdhsa_workgroup_processor_mode 1
		.amdhsa_memory_ordered 1
		.amdhsa_forward_progress 0
		.amdhsa_shared_vgpr_count 0
		.amdhsa_exception_fp_ieee_invalid_op 0
		.amdhsa_exception_fp_denorm_src 0
		.amdhsa_exception_fp_ieee_div_zero 0
		.amdhsa_exception_fp_ieee_overflow 0
		.amdhsa_exception_fp_ieee_underflow 0
		.amdhsa_exception_fp_ieee_inexact 0
		.amdhsa_exception_int_div_zero 0
	.end_amdhsa_kernel
	.section	.text._ZL27rocblas_axpy_kernel_batchedIiLi128ELi8EDF16_PKDF16_PKS1_PKPDF16_EviT3_lT4_lT_lT5_lS9_li,"axG",@progbits,_ZL27rocblas_axpy_kernel_batchedIiLi128ELi8EDF16_PKDF16_PKS1_PKPDF16_EviT3_lT4_lT_lT5_lS9_li,comdat
.Lfunc_end66:
	.size	_ZL27rocblas_axpy_kernel_batchedIiLi128ELi8EDF16_PKDF16_PKS1_PKPDF16_EviT3_lT4_lT_lT5_lS9_li, .Lfunc_end66-_ZL27rocblas_axpy_kernel_batchedIiLi128ELi8EDF16_PKDF16_PKS1_PKPDF16_EviT3_lT4_lT_lT5_lS9_li
                                        ; -- End function
	.section	.AMDGPU.csdata,"",@progbits
; Kernel info:
; codeLenInByte = 1296
; NumSgprs: 20
; NumVgprs: 14
; ScratchSize: 0
; MemoryBound: 0
; FloatMode: 240
; IeeeMode: 1
; LDSByteSize: 0 bytes/workgroup (compile time only)
; SGPRBlocks: 2
; VGPRBlocks: 1
; NumSGPRsForWavesPerEU: 20
; NumVGPRsForWavesPerEU: 14
; Occupancy: 16
; WaveLimiterHint : 1
; COMPUTE_PGM_RSRC2:SCRATCH_EN: 0
; COMPUTE_PGM_RSRC2:USER_SGPR: 14
; COMPUTE_PGM_RSRC2:TRAP_HANDLER: 0
; COMPUTE_PGM_RSRC2:TGID_X_EN: 1
; COMPUTE_PGM_RSRC2:TGID_Y_EN: 0
; COMPUTE_PGM_RSRC2:TGID_Z_EN: 1
; COMPUTE_PGM_RSRC2:TIDIG_COMP_CNT: 1
	.section	.text._ZL27rocblas_axpy_kernel_batchedIiLi128ELi8EDF16_DF16_PKPKDF16_PKPDF16_EviT3_lT4_lT_lT5_lS9_li,"axG",@progbits,_ZL27rocblas_axpy_kernel_batchedIiLi128ELi8EDF16_DF16_PKPKDF16_PKPDF16_EviT3_lT4_lT_lT5_lS9_li,comdat
	.globl	_ZL27rocblas_axpy_kernel_batchedIiLi128ELi8EDF16_DF16_PKPKDF16_PKPDF16_EviT3_lT4_lT_lT5_lS9_li ; -- Begin function _ZL27rocblas_axpy_kernel_batchedIiLi128ELi8EDF16_DF16_PKPKDF16_PKPDF16_EviT3_lT4_lT_lT5_lS9_li
	.p2align	8
	.type	_ZL27rocblas_axpy_kernel_batchedIiLi128ELi8EDF16_DF16_PKPKDF16_PKPDF16_EviT3_lT4_lT_lT5_lS9_li,@function
_ZL27rocblas_axpy_kernel_batchedIiLi128ELi8EDF16_DF16_PKPKDF16_PKPDF16_EviT3_lT4_lT_lT5_lS9_li: ; @_ZL27rocblas_axpy_kernel_batchedIiLi128ELi8EDF16_DF16_PKPKDF16_PKPDF16_EviT3_lT4_lT_lT5_lS9_li
; %bb.0:
	s_load_b64 s[8:9], s[0:1], 0x0
	v_dual_mov_b32 v2, 0 :: v_dual_and_b32 v1, 0x3ff, v0
	s_delay_alu instid0(VALU_DEP_1)
	v_lshl_add_u32 v1, s14, 7, v1
	s_waitcnt lgkmcnt(0)
	s_ashr_i32 s3, s8, 31
	s_mov_b32 s2, s8
	s_delay_alu instid0(VALU_DEP_1) | instid1(SALU_CYCLE_1)
	v_cmp_gt_i64_e32 vcc_lo, s[2:3], v[1:2]
	s_and_saveexec_b32 s2, vcc_lo
	s_cbranch_execz .LBB67_9
; %bb.1:
	s_clause 0x2
	s_load_b32 s10, s[0:1], 0x20
	s_load_b32 s11, s[0:1], 0x40
	;; [unrolled: 1-line block ×3, first 2 shown]
	v_bfe_u32 v4, v0, 10, 10
	s_clause 0x1
	s_load_b128 s[4:7], s[0:1], 0x10
	s_load_b128 s[0:3], s[0:1], 0x30
	s_waitcnt lgkmcnt(0)
	v_mad_u64_u32 v[2:3], null, s10, v1, 0
	v_mad_u64_u32 v[5:6], null, s11, v1, 0
	s_ashr_i32 s10, s10, 31
	s_ashr_i32 s11, s11, 31
	s_delay_alu instid0(VALU_DEP_1) | instskip(NEXT) | instid1(VALU_DEP_1)
	v_dual_mov_b32 v0, v3 :: v_dual_mov_b32 v3, v6
	v_mad_u64_u32 v[6:7], null, s10, v1, v[0:1]
	s_delay_alu instid0(VALU_DEP_2) | instskip(SKIP_2) | instid1(VALU_DEP_4)
	v_mad_u64_u32 v[7:8], null, s11, v1, v[3:4]
	v_lshlrev_b32_e32 v0, 2, v4
	v_cmp_neq_f16_e64 s10, s9, 0
	v_mov_b32_e32 v3, v6
	s_delay_alu instid0(VALU_DEP_3) | instskip(SKIP_1) | instid1(VALU_DEP_3)
	v_lshl_add_u32 v4, s15, 5, v0
	v_mov_b32_e32 v6, v7
	v_lshlrev_b64 v[0:1], 1, v[2:3]
	s_delay_alu instid0(VALU_DEP_3) | instskip(NEXT) | instid1(VALU_DEP_3)
	v_cmp_gt_u32_e32 vcc_lo, s8, v4
	v_lshlrev_b64 v[2:3], 1, v[5:6]
	s_and_b32 s12, s10, vcc_lo
	s_delay_alu instid0(SALU_CYCLE_1)
	s_and_saveexec_b32 s11, s12
	s_cbranch_execz .LBB67_3
; %bb.2:
	v_mov_b32_e32 v5, 0
	s_lshl_b64 s[14:15], s[2:3], 1
	s_lshl_b64 s[12:13], s[6:7], 1
	s_delay_alu instid0(VALU_DEP_1) | instskip(NEXT) | instid1(VALU_DEP_1)
	v_lshlrev_b64 v[5:6], 3, v[4:5]
	v_add_co_u32 v7, vcc_lo, s0, v5
	s_delay_alu instid0(VALU_DEP_2)
	v_add_co_ci_u32_e32 v8, vcc_lo, s1, v6, vcc_lo
	v_add_co_u32 v5, vcc_lo, s4, v5
	v_add_co_ci_u32_e32 v6, vcc_lo, s5, v6, vcc_lo
	global_load_b64 v[7:8], v[7:8], off
	global_load_b64 v[5:6], v[5:6], off
	s_waitcnt vmcnt(1)
	v_add_co_u32 v7, vcc_lo, v7, v2
	v_add_co_ci_u32_e32 v8, vcc_lo, v8, v3, vcc_lo
	s_waitcnt vmcnt(0)
	v_add_co_u32 v9, vcc_lo, v5, v0
	v_add_co_ci_u32_e32 v10, vcc_lo, v6, v1, vcc_lo
	v_add_co_u32 v5, vcc_lo, v7, s14
	v_add_co_ci_u32_e32 v6, vcc_lo, s15, v8, vcc_lo
	s_delay_alu instid0(VALU_DEP_4) | instskip(NEXT) | instid1(VALU_DEP_4)
	v_add_co_u32 v7, vcc_lo, v9, s12
	v_add_co_ci_u32_e32 v8, vcc_lo, s13, v10, vcc_lo
	global_load_u16 v9, v[5:6], off
	global_load_u16 v7, v[7:8], off
	s_waitcnt vmcnt(0)
	v_fmac_f16_e32 v9, s9, v7
	global_store_b16 v[5:6], v9, off
.LBB67_3:
	s_or_b32 exec_lo, exec_lo, s11
	v_or_b32_e32 v5, 1, v4
	s_delay_alu instid0(VALU_DEP_1) | instskip(SKIP_1) | instid1(SALU_CYCLE_1)
	v_cmp_gt_u32_e32 vcc_lo, s8, v5
	s_and_b32 s12, s10, vcc_lo
	s_and_saveexec_b32 s11, s12
	s_cbranch_execz .LBB67_5
; %bb.4:
	v_mov_b32_e32 v5, 0
	s_lshl_b64 s[14:15], s[2:3], 1
	s_lshl_b64 s[12:13], s[6:7], 1
	s_delay_alu instid0(VALU_DEP_1) | instskip(NEXT) | instid1(VALU_DEP_1)
	v_lshlrev_b64 v[5:6], 3, v[4:5]
	v_add_co_u32 v7, vcc_lo, s0, v5
	s_delay_alu instid0(VALU_DEP_2)
	v_add_co_ci_u32_e32 v8, vcc_lo, s1, v6, vcc_lo
	v_add_co_u32 v5, vcc_lo, s4, v5
	v_add_co_ci_u32_e32 v6, vcc_lo, s5, v6, vcc_lo
	global_load_b64 v[7:8], v[7:8], off offset:8
	global_load_b64 v[5:6], v[5:6], off offset:8
	s_waitcnt vmcnt(1)
	v_add_co_u32 v7, vcc_lo, v7, v2
	v_add_co_ci_u32_e32 v8, vcc_lo, v8, v3, vcc_lo
	s_waitcnt vmcnt(0)
	v_add_co_u32 v9, vcc_lo, v5, v0
	v_add_co_ci_u32_e32 v10, vcc_lo, v6, v1, vcc_lo
	v_add_co_u32 v5, vcc_lo, v7, s14
	v_add_co_ci_u32_e32 v6, vcc_lo, s15, v8, vcc_lo
	s_delay_alu instid0(VALU_DEP_4) | instskip(NEXT) | instid1(VALU_DEP_4)
	v_add_co_u32 v7, vcc_lo, v9, s12
	v_add_co_ci_u32_e32 v8, vcc_lo, s13, v10, vcc_lo
	global_load_u16 v9, v[5:6], off
	global_load_u16 v7, v[7:8], off
	s_waitcnt vmcnt(0)
	v_fmac_f16_e32 v9, s9, v7
	global_store_b16 v[5:6], v9, off
.LBB67_5:
	s_or_b32 exec_lo, exec_lo, s11
	v_or_b32_e32 v5, 2, v4
	s_delay_alu instid0(VALU_DEP_1) | instskip(SKIP_1) | instid1(SALU_CYCLE_1)
	v_cmp_gt_u32_e32 vcc_lo, s8, v5
	s_and_b32 s12, s10, vcc_lo
	s_and_saveexec_b32 s11, s12
	s_cbranch_execz .LBB67_7
; %bb.6:
	v_mov_b32_e32 v5, 0
	s_lshl_b64 s[14:15], s[2:3], 1
	s_lshl_b64 s[12:13], s[6:7], 1
	s_delay_alu instid0(VALU_DEP_1) | instskip(NEXT) | instid1(VALU_DEP_1)
	v_lshlrev_b64 v[5:6], 3, v[4:5]
	v_add_co_u32 v7, vcc_lo, s0, v5
	s_delay_alu instid0(VALU_DEP_2)
	v_add_co_ci_u32_e32 v8, vcc_lo, s1, v6, vcc_lo
	v_add_co_u32 v5, vcc_lo, s4, v5
	v_add_co_ci_u32_e32 v6, vcc_lo, s5, v6, vcc_lo
	global_load_b64 v[7:8], v[7:8], off offset:16
	global_load_b64 v[5:6], v[5:6], off offset:16
	s_waitcnt vmcnt(1)
	v_add_co_u32 v7, vcc_lo, v7, v2
	v_add_co_ci_u32_e32 v8, vcc_lo, v8, v3, vcc_lo
	s_waitcnt vmcnt(0)
	v_add_co_u32 v9, vcc_lo, v5, v0
	v_add_co_ci_u32_e32 v10, vcc_lo, v6, v1, vcc_lo
	v_add_co_u32 v5, vcc_lo, v7, s14
	v_add_co_ci_u32_e32 v6, vcc_lo, s15, v8, vcc_lo
	s_delay_alu instid0(VALU_DEP_4) | instskip(NEXT) | instid1(VALU_DEP_4)
	v_add_co_u32 v7, vcc_lo, v9, s12
	v_add_co_ci_u32_e32 v8, vcc_lo, s13, v10, vcc_lo
	global_load_u16 v9, v[5:6], off
	global_load_u16 v7, v[7:8], off
	s_waitcnt vmcnt(0)
	v_fmac_f16_e32 v9, s9, v7
	global_store_b16 v[5:6], v9, off
.LBB67_7:
	s_or_b32 exec_lo, exec_lo, s11
	v_or_b32_e32 v5, 3, v4
	s_delay_alu instid0(VALU_DEP_1) | instskip(SKIP_1) | instid1(SALU_CYCLE_1)
	v_cmp_gt_u32_e32 vcc_lo, s8, v5
	s_and_b32 s8, s10, vcc_lo
	s_and_b32 exec_lo, exec_lo, s8
	s_cbranch_execz .LBB67_9
; %bb.8:
	v_mov_b32_e32 v5, 0
	s_lshl_b64 s[2:3], s[2:3], 1
	s_delay_alu instid0(VALU_DEP_1) | instskip(NEXT) | instid1(VALU_DEP_1)
	v_lshlrev_b64 v[4:5], 3, v[4:5]
	v_add_co_u32 v6, vcc_lo, s0, v4
	s_delay_alu instid0(VALU_DEP_2)
	v_add_co_ci_u32_e32 v7, vcc_lo, s1, v5, vcc_lo
	v_add_co_u32 v4, vcc_lo, s4, v4
	v_add_co_ci_u32_e32 v5, vcc_lo, s5, v5, vcc_lo
	s_lshl_b64 s[0:1], s[6:7], 1
	global_load_b64 v[6:7], v[6:7], off offset:24
	global_load_b64 v[4:5], v[4:5], off offset:24
	s_waitcnt vmcnt(1)
	v_add_co_u32 v2, vcc_lo, v6, v2
	v_add_co_ci_u32_e32 v3, vcc_lo, v7, v3, vcc_lo
	s_waitcnt vmcnt(0)
	v_add_co_u32 v4, vcc_lo, v4, v0
	v_add_co_ci_u32_e32 v5, vcc_lo, v5, v1, vcc_lo
	v_add_co_u32 v0, vcc_lo, v2, s2
	v_add_co_ci_u32_e32 v1, vcc_lo, s3, v3, vcc_lo
	s_delay_alu instid0(VALU_DEP_4) | instskip(NEXT) | instid1(VALU_DEP_4)
	v_add_co_u32 v2, vcc_lo, v4, s0
	v_add_co_ci_u32_e32 v3, vcc_lo, s1, v5, vcc_lo
	global_load_u16 v4, v[0:1], off
	global_load_u16 v2, v[2:3], off
	s_waitcnt vmcnt(0)
	v_fmac_f16_e32 v4, s9, v2
	global_store_b16 v[0:1], v4, off
.LBB67_9:
	s_nop 0
	s_sendmsg sendmsg(MSG_DEALLOC_VGPRS)
	s_endpgm
	.section	.rodata,"a",@progbits
	.p2align	6, 0x0
	.amdhsa_kernel _ZL27rocblas_axpy_kernel_batchedIiLi128ELi8EDF16_DF16_PKPKDF16_PKPDF16_EviT3_lT4_lT_lT5_lS9_li
		.amdhsa_group_segment_fixed_size 0
		.amdhsa_private_segment_fixed_size 0
		.amdhsa_kernarg_size 84
		.amdhsa_user_sgpr_count 14
		.amdhsa_user_sgpr_dispatch_ptr 0
		.amdhsa_user_sgpr_queue_ptr 0
		.amdhsa_user_sgpr_kernarg_segment_ptr 1
		.amdhsa_user_sgpr_dispatch_id 0
		.amdhsa_user_sgpr_private_segment_size 0
		.amdhsa_wavefront_size32 1
		.amdhsa_uses_dynamic_stack 0
		.amdhsa_enable_private_segment 0
		.amdhsa_system_sgpr_workgroup_id_x 1
		.amdhsa_system_sgpr_workgroup_id_y 0
		.amdhsa_system_sgpr_workgroup_id_z 1
		.amdhsa_system_sgpr_workgroup_info 0
		.amdhsa_system_vgpr_workitem_id 1
		.amdhsa_next_free_vgpr 11
		.amdhsa_next_free_sgpr 16
		.amdhsa_reserve_vcc 1
		.amdhsa_float_round_mode_32 0
		.amdhsa_float_round_mode_16_64 0
		.amdhsa_float_denorm_mode_32 3
		.amdhsa_float_denorm_mode_16_64 3
		.amdhsa_dx10_clamp 1
		.amdhsa_ieee_mode 1
		.amdhsa_fp16_overflow 0
		.amdhsa_workgroup_processor_mode 1
		.amdhsa_memory_ordered 1
		.amdhsa_forward_progress 0
		.amdhsa_shared_vgpr_count 0
		.amdhsa_exception_fp_ieee_invalid_op 0
		.amdhsa_exception_fp_denorm_src 0
		.amdhsa_exception_fp_ieee_div_zero 0
		.amdhsa_exception_fp_ieee_overflow 0
		.amdhsa_exception_fp_ieee_underflow 0
		.amdhsa_exception_fp_ieee_inexact 0
		.amdhsa_exception_int_div_zero 0
	.end_amdhsa_kernel
	.section	.text._ZL27rocblas_axpy_kernel_batchedIiLi128ELi8EDF16_DF16_PKPKDF16_PKPDF16_EviT3_lT4_lT_lT5_lS9_li,"axG",@progbits,_ZL27rocblas_axpy_kernel_batchedIiLi128ELi8EDF16_DF16_PKPKDF16_PKPDF16_EviT3_lT4_lT_lT5_lS9_li,comdat
.Lfunc_end67:
	.size	_ZL27rocblas_axpy_kernel_batchedIiLi128ELi8EDF16_DF16_PKPKDF16_PKPDF16_EviT3_lT4_lT_lT5_lS9_li, .Lfunc_end67-_ZL27rocblas_axpy_kernel_batchedIiLi128ELi8EDF16_DF16_PKPKDF16_PKPDF16_EviT3_lT4_lT_lT5_lS9_li
                                        ; -- End function
	.section	.AMDGPU.csdata,"",@progbits
; Kernel info:
; codeLenInByte = 984
; NumSgprs: 18
; NumVgprs: 11
; ScratchSize: 0
; MemoryBound: 0
; FloatMode: 240
; IeeeMode: 1
; LDSByteSize: 0 bytes/workgroup (compile time only)
; SGPRBlocks: 2
; VGPRBlocks: 1
; NumSGPRsForWavesPerEU: 18
; NumVGPRsForWavesPerEU: 11
; Occupancy: 16
; WaveLimiterHint : 1
; COMPUTE_PGM_RSRC2:SCRATCH_EN: 0
; COMPUTE_PGM_RSRC2:USER_SGPR: 14
; COMPUTE_PGM_RSRC2:TRAP_HANDLER: 0
; COMPUTE_PGM_RSRC2:TGID_X_EN: 1
; COMPUTE_PGM_RSRC2:TGID_Y_EN: 0
; COMPUTE_PGM_RSRC2:TGID_Z_EN: 1
; COMPUTE_PGM_RSRC2:TIDIG_COMP_CNT: 1
	.section	.text._ZL19rocblas_axpy_kernelIiLi256EDF16_PKDF16_PKS1_PKPDF16_EviT2_lT3_lT_lT4_lS9_li,"axG",@progbits,_ZL19rocblas_axpy_kernelIiLi256EDF16_PKDF16_PKS1_PKPDF16_EviT2_lT3_lT_lT4_lS9_li,comdat
	.globl	_ZL19rocblas_axpy_kernelIiLi256EDF16_PKDF16_PKS1_PKPDF16_EviT2_lT3_lT_lT4_lS9_li ; -- Begin function _ZL19rocblas_axpy_kernelIiLi256EDF16_PKDF16_PKS1_PKPDF16_EviT2_lT3_lT_lT4_lS9_li
	.p2align	8
	.type	_ZL19rocblas_axpy_kernelIiLi256EDF16_PKDF16_PKS1_PKPDF16_EviT2_lT3_lT_lT4_lS9_li,@function
_ZL19rocblas_axpy_kernelIiLi256EDF16_PKDF16_PKS1_PKPDF16_EviT2_lT3_lT_lT4_lS9_li: ; @_ZL19rocblas_axpy_kernelIiLi256EDF16_PKDF16_PKS1_PKPDF16_EviT2_lT3_lT_lT4_lS9_li
; %bb.0:
	s_clause 0x1
	s_load_b128 s[8:11], s[0:1], 0x8
	s_load_b32 s2, s[0:1], 0x0
	v_mov_b32_e32 v1, 0
	v_lshl_or_b32 v0, s14, 8, v0
	s_waitcnt lgkmcnt(0)
	s_mul_i32 s3, s15, s11
	s_mul_hi_u32 s5, s15, s10
	s_mul_i32 s6, s15, s10
	s_add_i32 s7, s5, s3
	s_ashr_i32 s3, s2, 31
	s_lshl_b64 s[6:7], s[6:7], 1
	v_cmp_gt_i64_e32 vcc_lo, s[2:3], v[0:1]
	s_add_u32 s6, s8, s6
	s_addc_u32 s7, s9, s7
	s_mov_b32 s5, 0
	global_load_u16 v2, v1, s[6:7]
	s_waitcnt vmcnt(0)
	v_cmp_neq_f16_e64 s2, 0, v2
	s_delay_alu instid0(VALU_DEP_1) | instskip(NEXT) | instid1(SALU_CYCLE_1)
	s_and_b32 s2, vcc_lo, s2
	s_and_saveexec_b32 s3, s2
	s_cbranch_execz .LBB68_2
; %bb.1:
	s_clause 0x2
	s_load_b32 s12, s[0:1], 0x28
	s_load_b32 s13, s[0:1], 0x48
	s_load_b128 s[8:11], s[0:1], 0x18
	s_mov_b32 s4, s15
	s_delay_alu instid0(SALU_CYCLE_1)
	s_lshl_b64 s[4:5], s[4:5], 3
	s_waitcnt lgkmcnt(0)
	s_ashr_i32 s14, s12, 31
	s_ashr_i32 s15, s13, 31
	s_add_u32 s2, s8, s4
	s_addc_u32 s3, s9, s5
	v_mad_u64_u32 v[3:4], null, s13, v0, 0
	s_load_b64 s[6:7], s[2:3], 0x0
	s_load_b128 s[0:3], s[0:1], 0x38
	v_mad_u64_u32 v[5:6], null, s12, v0, 0
	s_lshl_b64 s[8:9], s[10:11], 1
	s_delay_alu instid0(VALU_DEP_1) | instskip(NEXT) | instid1(VALU_DEP_1)
	v_dual_mov_b32 v1, v4 :: v_dual_mov_b32 v4, v6
	v_mad_u64_u32 v[6:7], null, s15, v0, v[1:2]
	s_delay_alu instid0(VALU_DEP_2) | instskip(NEXT) | instid1(VALU_DEP_2)
	v_mad_u64_u32 v[7:8], null, s14, v0, v[4:5]
	v_mov_b32_e32 v4, v6
	s_waitcnt lgkmcnt(0)
	s_add_u32 s6, s8, s6
	s_addc_u32 s7, s9, s7
	s_add_u32 s0, s0, s4
	s_addc_u32 s1, s1, s5
	s_delay_alu instid0(VALU_DEP_2) | instskip(SKIP_3) | instid1(VALU_DEP_2)
	v_mov_b32_e32 v6, v7
	s_load_b64 s[0:1], s[0:1], 0x0
	v_lshlrev_b64 v[0:1], 1, v[3:4]
	s_lshl_b64 s[2:3], s[2:3], 1
	v_lshlrev_b64 v[3:4], 1, v[5:6]
	s_waitcnt lgkmcnt(0)
	s_add_u32 s0, s2, s0
	s_addc_u32 s1, s3, s1
	v_add_co_u32 v0, vcc_lo, s0, v0
	v_add_co_ci_u32_e32 v1, vcc_lo, s1, v1, vcc_lo
	v_add_co_u32 v3, vcc_lo, s6, v3
	v_add_co_ci_u32_e32 v4, vcc_lo, s7, v4, vcc_lo
	global_load_u16 v5, v[0:1], off
	global_load_u16 v3, v[3:4], off
	s_waitcnt vmcnt(0)
	v_fmac_f16_e32 v5, v2, v3
	global_store_b16 v[0:1], v5, off
.LBB68_2:
	s_nop 0
	s_sendmsg sendmsg(MSG_DEALLOC_VGPRS)
	s_endpgm
	.section	.rodata,"a",@progbits
	.p2align	6, 0x0
	.amdhsa_kernel _ZL19rocblas_axpy_kernelIiLi256EDF16_PKDF16_PKS1_PKPDF16_EviT2_lT3_lT_lT4_lS9_li
		.amdhsa_group_segment_fixed_size 0
		.amdhsa_private_segment_fixed_size 0
		.amdhsa_kernarg_size 92
		.amdhsa_user_sgpr_count 14
		.amdhsa_user_sgpr_dispatch_ptr 0
		.amdhsa_user_sgpr_queue_ptr 0
		.amdhsa_user_sgpr_kernarg_segment_ptr 1
		.amdhsa_user_sgpr_dispatch_id 0
		.amdhsa_user_sgpr_private_segment_size 0
		.amdhsa_wavefront_size32 1
		.amdhsa_uses_dynamic_stack 0
		.amdhsa_enable_private_segment 0
		.amdhsa_system_sgpr_workgroup_id_x 1
		.amdhsa_system_sgpr_workgroup_id_y 0
		.amdhsa_system_sgpr_workgroup_id_z 1
		.amdhsa_system_sgpr_workgroup_info 0
		.amdhsa_system_vgpr_workitem_id 0
		.amdhsa_next_free_vgpr 9
		.amdhsa_next_free_sgpr 16
		.amdhsa_reserve_vcc 1
		.amdhsa_float_round_mode_32 0
		.amdhsa_float_round_mode_16_64 0
		.amdhsa_float_denorm_mode_32 3
		.amdhsa_float_denorm_mode_16_64 3
		.amdhsa_dx10_clamp 1
		.amdhsa_ieee_mode 1
		.amdhsa_fp16_overflow 0
		.amdhsa_workgroup_processor_mode 1
		.amdhsa_memory_ordered 1
		.amdhsa_forward_progress 0
		.amdhsa_shared_vgpr_count 0
		.amdhsa_exception_fp_ieee_invalid_op 0
		.amdhsa_exception_fp_denorm_src 0
		.amdhsa_exception_fp_ieee_div_zero 0
		.amdhsa_exception_fp_ieee_overflow 0
		.amdhsa_exception_fp_ieee_underflow 0
		.amdhsa_exception_fp_ieee_inexact 0
		.amdhsa_exception_int_div_zero 0
	.end_amdhsa_kernel
	.section	.text._ZL19rocblas_axpy_kernelIiLi256EDF16_PKDF16_PKS1_PKPDF16_EviT2_lT3_lT_lT4_lS9_li,"axG",@progbits,_ZL19rocblas_axpy_kernelIiLi256EDF16_PKDF16_PKS1_PKPDF16_EviT2_lT3_lT_lT4_lS9_li,comdat
.Lfunc_end68:
	.size	_ZL19rocblas_axpy_kernelIiLi256EDF16_PKDF16_PKS1_PKPDF16_EviT2_lT3_lT_lT4_lS9_li, .Lfunc_end68-_ZL19rocblas_axpy_kernelIiLi256EDF16_PKDF16_PKS1_PKPDF16_EviT2_lT3_lT_lT4_lS9_li
                                        ; -- End function
	.section	.AMDGPU.csdata,"",@progbits
; Kernel info:
; codeLenInByte = 380
; NumSgprs: 18
; NumVgprs: 9
; ScratchSize: 0
; MemoryBound: 0
; FloatMode: 240
; IeeeMode: 1
; LDSByteSize: 0 bytes/workgroup (compile time only)
; SGPRBlocks: 2
; VGPRBlocks: 1
; NumSGPRsForWavesPerEU: 18
; NumVGPRsForWavesPerEU: 9
; Occupancy: 16
; WaveLimiterHint : 1
; COMPUTE_PGM_RSRC2:SCRATCH_EN: 0
; COMPUTE_PGM_RSRC2:USER_SGPR: 14
; COMPUTE_PGM_RSRC2:TRAP_HANDLER: 0
; COMPUTE_PGM_RSRC2:TGID_X_EN: 1
; COMPUTE_PGM_RSRC2:TGID_Y_EN: 0
; COMPUTE_PGM_RSRC2:TGID_Z_EN: 1
; COMPUTE_PGM_RSRC2:TIDIG_COMP_CNT: 0
	.section	.text._ZL19rocblas_axpy_kernelIiLi256EDF16_DF16_PKPKDF16_PKPDF16_EviT2_lT3_lT_lT4_lS9_li,"axG",@progbits,_ZL19rocblas_axpy_kernelIiLi256EDF16_DF16_PKPKDF16_PKPDF16_EviT2_lT3_lT_lT4_lS9_li,comdat
	.globl	_ZL19rocblas_axpy_kernelIiLi256EDF16_DF16_PKPKDF16_PKPDF16_EviT2_lT3_lT_lT4_lS9_li ; -- Begin function _ZL19rocblas_axpy_kernelIiLi256EDF16_DF16_PKPKDF16_PKPDF16_EviT2_lT3_lT_lT4_lS9_li
	.p2align	8
	.type	_ZL19rocblas_axpy_kernelIiLi256EDF16_DF16_PKPKDF16_PKPDF16_EviT2_lT3_lT_lT4_lS9_li,@function
_ZL19rocblas_axpy_kernelIiLi256EDF16_DF16_PKPKDF16_PKPDF16_EviT2_lT3_lT_lT4_lS9_li: ; @_ZL19rocblas_axpy_kernelIiLi256EDF16_DF16_PKPKDF16_PKPDF16_EviT2_lT3_lT_lT4_lS9_li
; %bb.0:
	s_load_b64 s[2:3], s[0:1], 0x0
	v_mov_b32_e32 v1, 0
	v_lshl_or_b32 v0, s14, 8, v0
	s_mov_b32 s5, 0
	s_waitcnt lgkmcnt(0)
	s_ashr_i32 s7, s2, 31
	s_mov_b32 s6, s2
	v_cmp_neq_f16_e64 s2, s3, 0
	v_cmp_gt_i64_e32 vcc_lo, s[6:7], v[0:1]
	s_delay_alu instid0(VALU_DEP_2) | instskip(NEXT) | instid1(SALU_CYCLE_1)
	s_and_b32 s2, s2, vcc_lo
	s_and_saveexec_b32 s6, s2
	s_cbranch_execz .LBB69_2
; %bb.1:
	s_clause 0x2
	s_load_b32 s2, s[0:1], 0x20
	s_load_b32 s14, s[0:1], 0x40
	s_load_b128 s[8:11], s[0:1], 0x10
	s_mov_b32 s4, s15
	s_delay_alu instid0(SALU_CYCLE_1)
	s_lshl_b64 s[12:13], s[4:5], 3
	s_waitcnt lgkmcnt(0)
	s_ashr_i32 s15, s2, 31
	s_ashr_i32 s16, s14, 31
	s_add_u32 s4, s8, s12
	s_addc_u32 s5, s9, s13
	v_mad_u64_u32 v[1:2], null, s14, v0, 0
	s_load_b64 s[8:9], s[4:5], 0x0
	s_load_b128 s[4:7], s[0:1], 0x30
	v_mad_u64_u32 v[3:4], null, s2, v0, 0
	s_lshl_b64 s[0:1], s[10:11], 1
	s_delay_alu instid0(VALU_DEP_1) | instskip(NEXT) | instid1(VALU_DEP_1)
	v_mad_u64_u32 v[5:6], null, s16, v0, v[2:3]
	v_mad_u64_u32 v[6:7], null, s15, v0, v[4:5]
	s_waitcnt lgkmcnt(0)
	s_add_u32 s2, s0, s8
	s_addc_u32 s8, s1, s9
	s_add_u32 s0, s4, s12
	s_addc_u32 s1, s5, s13
	v_mov_b32_e32 v2, v5
	s_load_b64 s[0:1], s[0:1], 0x0
	v_mov_b32_e32 v4, v6
	s_lshl_b64 s[4:5], s[6:7], 1
	s_delay_alu instid0(VALU_DEP_2) | instskip(NEXT) | instid1(VALU_DEP_2)
	v_lshlrev_b64 v[0:1], 1, v[1:2]
	v_lshlrev_b64 v[2:3], 1, v[3:4]
	s_waitcnt lgkmcnt(0)
	s_add_u32 s0, s4, s0
	s_addc_u32 s1, s5, s1
	s_delay_alu instid0(VALU_DEP_2)
	v_add_co_u32 v0, vcc_lo, s0, v0
	v_add_co_ci_u32_e32 v1, vcc_lo, s1, v1, vcc_lo
	v_add_co_u32 v2, vcc_lo, s2, v2
	v_add_co_ci_u32_e32 v3, vcc_lo, s8, v3, vcc_lo
	global_load_u16 v4, v[0:1], off
	global_load_u16 v2, v[2:3], off
	s_waitcnt vmcnt(0)
	v_fmac_f16_e32 v4, s3, v2
	global_store_b16 v[0:1], v4, off
.LBB69_2:
	s_nop 0
	s_sendmsg sendmsg(MSG_DEALLOC_VGPRS)
	s_endpgm
	.section	.rodata,"a",@progbits
	.p2align	6, 0x0
	.amdhsa_kernel _ZL19rocblas_axpy_kernelIiLi256EDF16_DF16_PKPKDF16_PKPDF16_EviT2_lT3_lT_lT4_lS9_li
		.amdhsa_group_segment_fixed_size 0
		.amdhsa_private_segment_fixed_size 0
		.amdhsa_kernarg_size 84
		.amdhsa_user_sgpr_count 14
		.amdhsa_user_sgpr_dispatch_ptr 0
		.amdhsa_user_sgpr_queue_ptr 0
		.amdhsa_user_sgpr_kernarg_segment_ptr 1
		.amdhsa_user_sgpr_dispatch_id 0
		.amdhsa_user_sgpr_private_segment_size 0
		.amdhsa_wavefront_size32 1
		.amdhsa_uses_dynamic_stack 0
		.amdhsa_enable_private_segment 0
		.amdhsa_system_sgpr_workgroup_id_x 1
		.amdhsa_system_sgpr_workgroup_id_y 0
		.amdhsa_system_sgpr_workgroup_id_z 1
		.amdhsa_system_sgpr_workgroup_info 0
		.amdhsa_system_vgpr_workitem_id 0
		.amdhsa_next_free_vgpr 8
		.amdhsa_next_free_sgpr 17
		.amdhsa_reserve_vcc 1
		.amdhsa_float_round_mode_32 0
		.amdhsa_float_round_mode_16_64 0
		.amdhsa_float_denorm_mode_32 3
		.amdhsa_float_denorm_mode_16_64 3
		.amdhsa_dx10_clamp 1
		.amdhsa_ieee_mode 1
		.amdhsa_fp16_overflow 0
		.amdhsa_workgroup_processor_mode 1
		.amdhsa_memory_ordered 1
		.amdhsa_forward_progress 0
		.amdhsa_shared_vgpr_count 0
		.amdhsa_exception_fp_ieee_invalid_op 0
		.amdhsa_exception_fp_denorm_src 0
		.amdhsa_exception_fp_ieee_div_zero 0
		.amdhsa_exception_fp_ieee_overflow 0
		.amdhsa_exception_fp_ieee_underflow 0
		.amdhsa_exception_fp_ieee_inexact 0
		.amdhsa_exception_int_div_zero 0
	.end_amdhsa_kernel
	.section	.text._ZL19rocblas_axpy_kernelIiLi256EDF16_DF16_PKPKDF16_PKPDF16_EviT2_lT3_lT_lT4_lS9_li,"axG",@progbits,_ZL19rocblas_axpy_kernelIiLi256EDF16_DF16_PKPKDF16_PKPDF16_EviT2_lT3_lT_lT4_lS9_li,comdat
.Lfunc_end69:
	.size	_ZL19rocblas_axpy_kernelIiLi256EDF16_DF16_PKPKDF16_PKPDF16_EviT2_lT3_lT_lT4_lS9_li, .Lfunc_end69-_ZL19rocblas_axpy_kernelIiLi256EDF16_DF16_PKPKDF16_PKPDF16_EviT2_lT3_lT_lT4_lS9_li
                                        ; -- End function
	.section	.AMDGPU.csdata,"",@progbits
; Kernel info:
; codeLenInByte = 324
; NumSgprs: 19
; NumVgprs: 8
; ScratchSize: 0
; MemoryBound: 0
; FloatMode: 240
; IeeeMode: 1
; LDSByteSize: 0 bytes/workgroup (compile time only)
; SGPRBlocks: 2
; VGPRBlocks: 0
; NumSGPRsForWavesPerEU: 19
; NumVGPRsForWavesPerEU: 8
; Occupancy: 16
; WaveLimiterHint : 1
; COMPUTE_PGM_RSRC2:SCRATCH_EN: 0
; COMPUTE_PGM_RSRC2:USER_SGPR: 14
; COMPUTE_PGM_RSRC2:TRAP_HANDLER: 0
; COMPUTE_PGM_RSRC2:TGID_X_EN: 1
; COMPUTE_PGM_RSRC2:TGID_Y_EN: 0
; COMPUTE_PGM_RSRC2:TGID_Z_EN: 1
; COMPUTE_PGM_RSRC2:TIDIG_COMP_CNT: 0
	.section	.text._ZL19rocblas_axpy_kernelIlLi256EDF16_PKDF16_PKS1_PKPDF16_EviT2_lT3_lT_lT4_lS9_li,"axG",@progbits,_ZL19rocblas_axpy_kernelIlLi256EDF16_PKDF16_PKS1_PKPDF16_EviT2_lT3_lT_lT4_lS9_li,comdat
	.globl	_ZL19rocblas_axpy_kernelIlLi256EDF16_PKDF16_PKS1_PKPDF16_EviT2_lT3_lT_lT4_lS9_li ; -- Begin function _ZL19rocblas_axpy_kernelIlLi256EDF16_PKDF16_PKS1_PKPDF16_EviT2_lT3_lT_lT4_lS9_li
	.p2align	8
	.type	_ZL19rocblas_axpy_kernelIlLi256EDF16_PKDF16_PKS1_PKPDF16_EviT2_lT3_lT_lT4_lS9_li,@function
_ZL19rocblas_axpy_kernelIlLi256EDF16_PKDF16_PKS1_PKPDF16_EviT2_lT3_lT_lT4_lS9_li: ; @_ZL19rocblas_axpy_kernelIlLi256EDF16_PKDF16_PKS1_PKPDF16_EviT2_lT3_lT_lT4_lS9_li
; %bb.0:
	s_clause 0x1
	s_load_b128 s[4:7], s[0:1], 0x8
	s_load_b32 s2, s[0:1], 0x0
	v_mov_b32_e32 v1, 0
	v_lshl_or_b32 v0, s14, 8, v0
	s_mov_b32 s9, 0
	s_waitcnt lgkmcnt(0)
	s_mul_i32 s3, s15, s7
	s_mul_hi_u32 s7, s15, s6
	s_mul_i32 s6, s15, s6
	s_add_i32 s7, s7, s3
	s_ashr_i32 s3, s2, 31
	s_lshl_b64 s[6:7], s[6:7], 1
	v_cmp_gt_i64_e32 vcc_lo, s[2:3], v[0:1]
	s_add_u32 s4, s4, s6
	s_addc_u32 s5, s5, s7
	global_load_u16 v2, v1, s[4:5]
	s_waitcnt vmcnt(0)
	v_cmp_neq_f16_e64 s2, 0, v2
	s_delay_alu instid0(VALU_DEP_1) | instskip(NEXT) | instid1(SALU_CYCLE_1)
	s_and_b32 s2, vcc_lo, s2
	s_and_saveexec_b32 s3, s2
	s_cbranch_execz .LBB70_2
; %bb.1:
	s_clause 0x1
	s_load_b64 s[2:3], s[0:1], 0x18
	s_load_b128 s[4:7], s[0:1], 0x40
	s_mov_b32 s8, s15
	s_delay_alu instid0(SALU_CYCLE_1)
	s_lshl_b64 s[12:13], s[8:9], 3
	s_load_b128 s[8:11], s[0:1], 0x20
	s_waitcnt lgkmcnt(0)
	s_add_u32 s2, s2, s12
	s_addc_u32 s3, s3, s13
	v_mad_u64_u32 v[3:4], null, v0, s6, 0
	s_load_b64 s[2:3], s[2:3], 0x0
	s_load_b64 s[0:1], s[0:1], 0x38
	v_mad_u64_u32 v[5:6], null, v0, s10, 0
	s_lshl_b64 s[8:9], s[8:9], 1
	s_delay_alu instid0(VALU_DEP_1) | instskip(NEXT) | instid1(VALU_DEP_1)
	v_dual_mov_b32 v1, v4 :: v_dual_mov_b32 v4, v6
	v_mad_u64_u32 v[6:7], null, v0, s7, v[1:2]
	s_delay_alu instid0(VALU_DEP_2)
	v_mad_u64_u32 v[7:8], null, v0, s11, v[4:5]
	s_waitcnt lgkmcnt(0)
	s_add_u32 s6, s8, s2
	s_addc_u32 s8, s9, s3
	s_add_u32 s0, s0, s12
	s_addc_u32 s1, s1, s13
	s_delay_alu instid0(VALU_DEP_2) | instskip(SKIP_3) | instid1(VALU_DEP_2)
	v_mov_b32_e32 v4, v6
	s_load_b64 s[0:1], s[0:1], 0x0
	v_mov_b32_e32 v6, v7
	s_lshl_b64 s[2:3], s[4:5], 1
	v_lshlrev_b64 v[0:1], 1, v[3:4]
	s_delay_alu instid0(VALU_DEP_2) | instskip(SKIP_3) | instid1(VALU_DEP_2)
	v_lshlrev_b64 v[3:4], 1, v[5:6]
	s_waitcnt lgkmcnt(0)
	s_add_u32 s0, s2, s0
	s_addc_u32 s1, s3, s1
	v_add_co_u32 v0, vcc_lo, s0, v0
	v_add_co_ci_u32_e32 v1, vcc_lo, s1, v1, vcc_lo
	v_add_co_u32 v3, vcc_lo, s6, v3
	v_add_co_ci_u32_e32 v4, vcc_lo, s8, v4, vcc_lo
	global_load_u16 v5, v[0:1], off
	global_load_u16 v3, v[3:4], off
	s_waitcnt vmcnt(0)
	v_fmac_f16_e32 v5, v2, v3
	global_store_b16 v[0:1], v5, off
.LBB70_2:
	s_nop 0
	s_sendmsg sendmsg(MSG_DEALLOC_VGPRS)
	s_endpgm
	.section	.rodata,"a",@progbits
	.p2align	6, 0x0
	.amdhsa_kernel _ZL19rocblas_axpy_kernelIlLi256EDF16_PKDF16_PKS1_PKPDF16_EviT2_lT3_lT_lT4_lS9_li
		.amdhsa_group_segment_fixed_size 0
		.amdhsa_private_segment_fixed_size 0
		.amdhsa_kernarg_size 92
		.amdhsa_user_sgpr_count 14
		.amdhsa_user_sgpr_dispatch_ptr 0
		.amdhsa_user_sgpr_queue_ptr 0
		.amdhsa_user_sgpr_kernarg_segment_ptr 1
		.amdhsa_user_sgpr_dispatch_id 0
		.amdhsa_user_sgpr_private_segment_size 0
		.amdhsa_wavefront_size32 1
		.amdhsa_uses_dynamic_stack 0
		.amdhsa_enable_private_segment 0
		.amdhsa_system_sgpr_workgroup_id_x 1
		.amdhsa_system_sgpr_workgroup_id_y 0
		.amdhsa_system_sgpr_workgroup_id_z 1
		.amdhsa_system_sgpr_workgroup_info 0
		.amdhsa_system_vgpr_workitem_id 0
		.amdhsa_next_free_vgpr 9
		.amdhsa_next_free_sgpr 16
		.amdhsa_reserve_vcc 1
		.amdhsa_float_round_mode_32 0
		.amdhsa_float_round_mode_16_64 0
		.amdhsa_float_denorm_mode_32 3
		.amdhsa_float_denorm_mode_16_64 3
		.amdhsa_dx10_clamp 1
		.amdhsa_ieee_mode 1
		.amdhsa_fp16_overflow 0
		.amdhsa_workgroup_processor_mode 1
		.amdhsa_memory_ordered 1
		.amdhsa_forward_progress 0
		.amdhsa_shared_vgpr_count 0
		.amdhsa_exception_fp_ieee_invalid_op 0
		.amdhsa_exception_fp_denorm_src 0
		.amdhsa_exception_fp_ieee_div_zero 0
		.amdhsa_exception_fp_ieee_overflow 0
		.amdhsa_exception_fp_ieee_underflow 0
		.amdhsa_exception_fp_ieee_inexact 0
		.amdhsa_exception_int_div_zero 0
	.end_amdhsa_kernel
	.section	.text._ZL19rocblas_axpy_kernelIlLi256EDF16_PKDF16_PKS1_PKPDF16_EviT2_lT3_lT_lT4_lS9_li,"axG",@progbits,_ZL19rocblas_axpy_kernelIlLi256EDF16_PKDF16_PKS1_PKPDF16_EviT2_lT3_lT_lT4_lS9_li,comdat
.Lfunc_end70:
	.size	_ZL19rocblas_axpy_kernelIlLi256EDF16_PKDF16_PKS1_PKPDF16_EviT2_lT3_lT_lT4_lS9_li, .Lfunc_end70-_ZL19rocblas_axpy_kernelIlLi256EDF16_PKDF16_PKS1_PKPDF16_EviT2_lT3_lT_lT4_lS9_li
                                        ; -- End function
	.section	.AMDGPU.csdata,"",@progbits
; Kernel info:
; codeLenInByte = 376
; NumSgprs: 18
; NumVgprs: 9
; ScratchSize: 0
; MemoryBound: 0
; FloatMode: 240
; IeeeMode: 1
; LDSByteSize: 0 bytes/workgroup (compile time only)
; SGPRBlocks: 2
; VGPRBlocks: 1
; NumSGPRsForWavesPerEU: 18
; NumVGPRsForWavesPerEU: 9
; Occupancy: 16
; WaveLimiterHint : 1
; COMPUTE_PGM_RSRC2:SCRATCH_EN: 0
; COMPUTE_PGM_RSRC2:USER_SGPR: 14
; COMPUTE_PGM_RSRC2:TRAP_HANDLER: 0
; COMPUTE_PGM_RSRC2:TGID_X_EN: 1
; COMPUTE_PGM_RSRC2:TGID_Y_EN: 0
; COMPUTE_PGM_RSRC2:TGID_Z_EN: 1
; COMPUTE_PGM_RSRC2:TIDIG_COMP_CNT: 0
	.section	.text._ZL19rocblas_axpy_kernelIlLi256EDF16_DF16_PKPKDF16_PKPDF16_EviT2_lT3_lT_lT4_lS9_li,"axG",@progbits,_ZL19rocblas_axpy_kernelIlLi256EDF16_DF16_PKPKDF16_PKPDF16_EviT2_lT3_lT_lT4_lS9_li,comdat
	.globl	_ZL19rocblas_axpy_kernelIlLi256EDF16_DF16_PKPKDF16_PKPDF16_EviT2_lT3_lT_lT4_lS9_li ; -- Begin function _ZL19rocblas_axpy_kernelIlLi256EDF16_DF16_PKPKDF16_PKPDF16_EviT2_lT3_lT_lT4_lS9_li
	.p2align	8
	.type	_ZL19rocblas_axpy_kernelIlLi256EDF16_DF16_PKPKDF16_PKPDF16_EviT2_lT3_lT_lT4_lS9_li,@function
_ZL19rocblas_axpy_kernelIlLi256EDF16_DF16_PKPKDF16_PKPDF16_EviT2_lT3_lT_lT4_lS9_li: ; @_ZL19rocblas_axpy_kernelIlLi256EDF16_DF16_PKPKDF16_PKPDF16_EviT2_lT3_lT_lT4_lS9_li
; %bb.0:
	s_load_b64 s[2:3], s[0:1], 0x0
	v_mov_b32_e32 v1, 0
	v_lshl_or_b32 v0, s14, 8, v0
	s_mov_b32 s9, 0
	s_waitcnt lgkmcnt(0)
	s_ashr_i32 s5, s2, 31
	s_mov_b32 s4, s2
	v_cmp_neq_f16_e64 s2, s3, 0
	v_cmp_gt_i64_e32 vcc_lo, s[4:5], v[0:1]
	s_delay_alu instid0(VALU_DEP_2) | instskip(NEXT) | instid1(SALU_CYCLE_1)
	s_and_b32 s2, s2, vcc_lo
	s_and_saveexec_b32 s4, s2
	s_cbranch_execz .LBB71_2
; %bb.1:
	s_clause 0x1
	s_load_b64 s[12:13], s[0:1], 0x10
	s_load_b128 s[4:7], s[0:1], 0x38
	s_mov_b32 s8, s15
	s_delay_alu instid0(SALU_CYCLE_1)
	s_lshl_b64 s[14:15], s[8:9], 3
	s_load_b128 s[8:11], s[0:1], 0x18
	s_waitcnt lgkmcnt(0)
	s_add_u32 s12, s12, s14
	s_addc_u32 s13, s13, s15
	v_mad_u64_u32 v[1:2], null, v0, s6, 0
	s_load_b64 s[12:13], s[12:13], 0x0
	s_load_b64 s[0:1], s[0:1], 0x30
	v_mad_u64_u32 v[3:4], null, v0, s10, 0
	s_lshl_b64 s[8:9], s[8:9], 1
	s_delay_alu instid0(VALU_DEP_1) | instskip(NEXT) | instid1(VALU_DEP_1)
	v_mad_u64_u32 v[5:6], null, v0, s7, v[2:3]
	v_mad_u64_u32 v[6:7], null, v0, s11, v[4:5]
	s_waitcnt lgkmcnt(0)
	s_add_u32 s2, s8, s12
	s_addc_u32 s6, s9, s13
	s_add_u32 s0, s0, s14
	s_addc_u32 s1, s1, s15
	v_mov_b32_e32 v2, v5
	s_load_b64 s[0:1], s[0:1], 0x0
	v_mov_b32_e32 v4, v6
	s_lshl_b64 s[4:5], s[4:5], 1
	s_delay_alu instid0(VALU_DEP_2) | instskip(NEXT) | instid1(VALU_DEP_2)
	v_lshlrev_b64 v[0:1], 1, v[1:2]
	v_lshlrev_b64 v[2:3], 1, v[3:4]
	s_waitcnt lgkmcnt(0)
	s_add_u32 s0, s4, s0
	s_addc_u32 s1, s5, s1
	s_delay_alu instid0(VALU_DEP_2)
	v_add_co_u32 v0, vcc_lo, s0, v0
	v_add_co_ci_u32_e32 v1, vcc_lo, s1, v1, vcc_lo
	v_add_co_u32 v2, vcc_lo, s2, v2
	v_add_co_ci_u32_e32 v3, vcc_lo, s6, v3, vcc_lo
	global_load_u16 v4, v[0:1], off
	global_load_u16 v2, v[2:3], off
	s_waitcnt vmcnt(0)
	v_fmac_f16_e32 v4, s3, v2
	global_store_b16 v[0:1], v4, off
.LBB71_2:
	s_nop 0
	s_sendmsg sendmsg(MSG_DEALLOC_VGPRS)
	s_endpgm
	.section	.rodata,"a",@progbits
	.p2align	6, 0x0
	.amdhsa_kernel _ZL19rocblas_axpy_kernelIlLi256EDF16_DF16_PKPKDF16_PKPDF16_EviT2_lT3_lT_lT4_lS9_li
		.amdhsa_group_segment_fixed_size 0
		.amdhsa_private_segment_fixed_size 0
		.amdhsa_kernarg_size 84
		.amdhsa_user_sgpr_count 14
		.amdhsa_user_sgpr_dispatch_ptr 0
		.amdhsa_user_sgpr_queue_ptr 0
		.amdhsa_user_sgpr_kernarg_segment_ptr 1
		.amdhsa_user_sgpr_dispatch_id 0
		.amdhsa_user_sgpr_private_segment_size 0
		.amdhsa_wavefront_size32 1
		.amdhsa_uses_dynamic_stack 0
		.amdhsa_enable_private_segment 0
		.amdhsa_system_sgpr_workgroup_id_x 1
		.amdhsa_system_sgpr_workgroup_id_y 0
		.amdhsa_system_sgpr_workgroup_id_z 1
		.amdhsa_system_sgpr_workgroup_info 0
		.amdhsa_system_vgpr_workitem_id 0
		.amdhsa_next_free_vgpr 8
		.amdhsa_next_free_sgpr 16
		.amdhsa_reserve_vcc 1
		.amdhsa_float_round_mode_32 0
		.amdhsa_float_round_mode_16_64 0
		.amdhsa_float_denorm_mode_32 3
		.amdhsa_float_denorm_mode_16_64 3
		.amdhsa_dx10_clamp 1
		.amdhsa_ieee_mode 1
		.amdhsa_fp16_overflow 0
		.amdhsa_workgroup_processor_mode 1
		.amdhsa_memory_ordered 1
		.amdhsa_forward_progress 0
		.amdhsa_shared_vgpr_count 0
		.amdhsa_exception_fp_ieee_invalid_op 0
		.amdhsa_exception_fp_denorm_src 0
		.amdhsa_exception_fp_ieee_div_zero 0
		.amdhsa_exception_fp_ieee_overflow 0
		.amdhsa_exception_fp_ieee_underflow 0
		.amdhsa_exception_fp_ieee_inexact 0
		.amdhsa_exception_int_div_zero 0
	.end_amdhsa_kernel
	.section	.text._ZL19rocblas_axpy_kernelIlLi256EDF16_DF16_PKPKDF16_PKPDF16_EviT2_lT3_lT_lT4_lS9_li,"axG",@progbits,_ZL19rocblas_axpy_kernelIlLi256EDF16_DF16_PKPKDF16_PKPDF16_EviT2_lT3_lT_lT4_lS9_li,comdat
.Lfunc_end71:
	.size	_ZL19rocblas_axpy_kernelIlLi256EDF16_DF16_PKPKDF16_PKPDF16_EviT2_lT3_lT_lT4_lS9_li, .Lfunc_end71-_ZL19rocblas_axpy_kernelIlLi256EDF16_DF16_PKPKDF16_PKPDF16_EviT2_lT3_lT_lT4_lS9_li
                                        ; -- End function
	.section	.AMDGPU.csdata,"",@progbits
; Kernel info:
; codeLenInByte = 316
; NumSgprs: 18
; NumVgprs: 8
; ScratchSize: 0
; MemoryBound: 0
; FloatMode: 240
; IeeeMode: 1
; LDSByteSize: 0 bytes/workgroup (compile time only)
; SGPRBlocks: 2
; VGPRBlocks: 0
; NumSGPRsForWavesPerEU: 18
; NumVGPRsForWavesPerEU: 8
; Occupancy: 16
; WaveLimiterHint : 1
; COMPUTE_PGM_RSRC2:SCRATCH_EN: 0
; COMPUTE_PGM_RSRC2:USER_SGPR: 14
; COMPUTE_PGM_RSRC2:TRAP_HANDLER: 0
; COMPUTE_PGM_RSRC2:TGID_X_EN: 1
; COMPUTE_PGM_RSRC2:TGID_Y_EN: 0
; COMPUTE_PGM_RSRC2:TGID_Z_EN: 1
; COMPUTE_PGM_RSRC2:TIDIG_COMP_CNT: 0
	.section	.text._ZL26rocblas_haxpy_mlt_8_kernelILi256EPKDF16_PKPKfPKPfEviT0_lT1_llT2_lli,"axG",@progbits,_ZL26rocblas_haxpy_mlt_8_kernelILi256EPKDF16_PKPKfPKPfEviT0_lT1_llT2_lli,comdat
	.globl	_ZL26rocblas_haxpy_mlt_8_kernelILi256EPKDF16_PKPKfPKPfEviT0_lT1_llT2_lli ; -- Begin function _ZL26rocblas_haxpy_mlt_8_kernelILi256EPKDF16_PKPKfPKPfEviT0_lT1_llT2_lli
	.p2align	8
	.type	_ZL26rocblas_haxpy_mlt_8_kernelILi256EPKDF16_PKPKfPKPfEviT0_lT1_llT2_lli,@function
_ZL26rocblas_haxpy_mlt_8_kernelILi256EPKDF16_PKPKfPKPfEviT0_lT1_llT2_lli: ; @_ZL26rocblas_haxpy_mlt_8_kernelILi256EPKDF16_PKPKfPKPfEviT0_lT1_llT2_lli
; %bb.0:
	s_load_b256 s[4:11], s[0:1], 0x8
	v_mov_b32_e32 v1, 0
	s_waitcnt lgkmcnt(0)
	s_mul_i32 s3, s15, s7
	s_mul_hi_u32 s7, s15, s6
	s_mul_i32 s6, s15, s6
	s_add_i32 s7, s7, s3
	s_mov_b32 s3, 0
	s_lshl_b64 s[6:7], s[6:7], 1
	s_delay_alu instid0(SALU_CYCLE_1) | instskip(SKIP_4) | instid1(VALU_DEP_1)
	s_add_u32 s4, s4, s6
	s_addc_u32 s5, s5, s7
	global_load_u16 v2, v1, s[4:5]
	s_waitcnt vmcnt(0)
	v_and_b32_e32 v3, 0xffff, v2
	v_lshl_or_b32 v3, v2, 16, v3
	s_delay_alu instid0(VALU_DEP_1) | instskip(NEXT) | instid1(VALU_DEP_1)
	v_and_b32_e32 v3, 0x7fff, v3
	v_cmp_eq_u32_e32 vcc_lo, 0, v3
	s_cbranch_vccnz .LBB72_3
; %bb.1:
	s_load_b32 s4, s[0:1], 0x0
	v_lshl_or_b32 v0, s14, 8, v0
	s_delay_alu instid0(VALU_DEP_1)
	v_lshlrev_b64 v[0:1], 3, v[0:1]
	s_waitcnt lgkmcnt(0)
	s_ashr_i32 s5, s4, 31
	s_delay_alu instid0(VALU_DEP_1) | instid1(SALU_CYCLE_1)
	v_cmp_gt_i64_e32 vcc_lo, s[4:5], v[0:1]
	s_and_saveexec_b32 s4, vcc_lo
	s_cbranch_execz .LBB72_3
; %bb.2:
	s_mov_b32 s2, s15
	v_lshlrev_b64 v[0:1], 2, v[0:1]
	s_lshl_b64 s[4:5], s[2:3], 3
	s_delay_alu instid0(SALU_CYCLE_1)
	s_add_u32 s2, s8, s4
	s_addc_u32 s3, s9, s5
	s_lshl_b64 s[8:9], s[10:11], 2
	s_load_b64 s[6:7], s[2:3], 0x0
	s_load_b128 s[0:3], s[0:1], 0x30
	s_waitcnt lgkmcnt(0)
	s_add_u32 s6, s8, s6
	s_addc_u32 s7, s9, s7
	s_add_u32 s0, s0, s4
	s_addc_u32 s1, s1, s5
	s_lshl_b64 s[2:3], s[2:3], 2
	s_load_b64 s[0:1], s[0:1], 0x0
	v_add_co_u32 v3, vcc_lo, s6, v0
	v_add_co_ci_u32_e32 v4, vcc_lo, s7, v1, vcc_lo
	s_waitcnt lgkmcnt(0)
	s_add_u32 s0, s2, s0
	s_addc_u32 s1, s3, s1
	v_add_co_u32 v0, vcc_lo, s0, v0
	v_add_co_ci_u32_e32 v1, vcc_lo, s1, v1, vcc_lo
	global_load_b128 v[3:6], v[3:4], off
	global_load_b128 v[7:10], v[0:1], off
	s_waitcnt vmcnt(0)
	v_pk_fma_f16 v6, v2, v6, v10 op_sel_hi:[0,1,1]
	v_pk_fma_f16 v5, v2, v5, v9 op_sel_hi:[0,1,1]
	;; [unrolled: 1-line block ×4, first 2 shown]
	global_store_b128 v[0:1], v[3:6], off
.LBB72_3:
	s_nop 0
	s_sendmsg sendmsg(MSG_DEALLOC_VGPRS)
	s_endpgm
	.section	.rodata,"a",@progbits
	.p2align	6, 0x0
	.amdhsa_kernel _ZL26rocblas_haxpy_mlt_8_kernelILi256EPKDF16_PKPKfPKPfEviT0_lT1_llT2_lli
		.amdhsa_group_segment_fixed_size 0
		.amdhsa_private_segment_fixed_size 0
		.amdhsa_kernarg_size 76
		.amdhsa_user_sgpr_count 14
		.amdhsa_user_sgpr_dispatch_ptr 0
		.amdhsa_user_sgpr_queue_ptr 0
		.amdhsa_user_sgpr_kernarg_segment_ptr 1
		.amdhsa_user_sgpr_dispatch_id 0
		.amdhsa_user_sgpr_private_segment_size 0
		.amdhsa_wavefront_size32 1
		.amdhsa_uses_dynamic_stack 0
		.amdhsa_enable_private_segment 0
		.amdhsa_system_sgpr_workgroup_id_x 1
		.amdhsa_system_sgpr_workgroup_id_y 0
		.amdhsa_system_sgpr_workgroup_id_z 1
		.amdhsa_system_sgpr_workgroup_info 0
		.amdhsa_system_vgpr_workitem_id 0
		.amdhsa_next_free_vgpr 11
		.amdhsa_next_free_sgpr 16
		.amdhsa_reserve_vcc 1
		.amdhsa_float_round_mode_32 0
		.amdhsa_float_round_mode_16_64 0
		.amdhsa_float_denorm_mode_32 3
		.amdhsa_float_denorm_mode_16_64 3
		.amdhsa_dx10_clamp 1
		.amdhsa_ieee_mode 1
		.amdhsa_fp16_overflow 0
		.amdhsa_workgroup_processor_mode 1
		.amdhsa_memory_ordered 1
		.amdhsa_forward_progress 0
		.amdhsa_shared_vgpr_count 0
		.amdhsa_exception_fp_ieee_invalid_op 0
		.amdhsa_exception_fp_denorm_src 0
		.amdhsa_exception_fp_ieee_div_zero 0
		.amdhsa_exception_fp_ieee_overflow 0
		.amdhsa_exception_fp_ieee_underflow 0
		.amdhsa_exception_fp_ieee_inexact 0
		.amdhsa_exception_int_div_zero 0
	.end_amdhsa_kernel
	.section	.text._ZL26rocblas_haxpy_mlt_8_kernelILi256EPKDF16_PKPKfPKPfEviT0_lT1_llT2_lli,"axG",@progbits,_ZL26rocblas_haxpy_mlt_8_kernelILi256EPKDF16_PKPKfPKPfEviT0_lT1_llT2_lli,comdat
.Lfunc_end72:
	.size	_ZL26rocblas_haxpy_mlt_8_kernelILi256EPKDF16_PKPKfPKPfEviT0_lT1_llT2_lli, .Lfunc_end72-_ZL26rocblas_haxpy_mlt_8_kernelILi256EPKDF16_PKPKfPKPfEviT0_lT1_llT2_lli
                                        ; -- End function
	.section	.AMDGPU.csdata,"",@progbits
; Kernel info:
; codeLenInByte = 340
; NumSgprs: 18
; NumVgprs: 11
; ScratchSize: 0
; MemoryBound: 0
; FloatMode: 240
; IeeeMode: 1
; LDSByteSize: 0 bytes/workgroup (compile time only)
; SGPRBlocks: 2
; VGPRBlocks: 1
; NumSGPRsForWavesPerEU: 18
; NumVGPRsForWavesPerEU: 11
; Occupancy: 16
; WaveLimiterHint : 1
; COMPUTE_PGM_RSRC2:SCRATCH_EN: 0
; COMPUTE_PGM_RSRC2:USER_SGPR: 14
; COMPUTE_PGM_RSRC2:TRAP_HANDLER: 0
; COMPUTE_PGM_RSRC2:TGID_X_EN: 1
; COMPUTE_PGM_RSRC2:TGID_Y_EN: 0
; COMPUTE_PGM_RSRC2:TGID_Z_EN: 1
; COMPUTE_PGM_RSRC2:TIDIG_COMP_CNT: 0
	.section	.text._ZL26rocblas_haxpy_mod_8_kernelILi256EPKfPKS1_PKPfEviT0_lT1_llT2_lli,"axG",@progbits,_ZL26rocblas_haxpy_mod_8_kernelILi256EPKfPKS1_PKPfEviT0_lT1_llT2_lli,comdat
	.globl	_ZL26rocblas_haxpy_mod_8_kernelILi256EPKfPKS1_PKPfEviT0_lT1_llT2_lli ; -- Begin function _ZL26rocblas_haxpy_mod_8_kernelILi256EPKfPKS1_PKPfEviT0_lT1_llT2_lli
	.p2align	8
	.type	_ZL26rocblas_haxpy_mod_8_kernelILi256EPKfPKS1_PKPfEviT0_lT1_llT2_lli,@function
_ZL26rocblas_haxpy_mod_8_kernelILi256EPKfPKS1_PKPfEviT0_lT1_llT2_lli: ; @_ZL26rocblas_haxpy_mod_8_kernelILi256EPKfPKS1_PKPfEviT0_lT1_llT2_lli
; %bb.0:
	s_clause 0x1
	s_load_b256 s[4:11], s[0:1], 0x8
	s_load_b32 s12, s[0:1], 0x0
	v_lshl_or_b32 v0, s14, 8, v0
	v_mov_b32_e32 v1, 0
	s_waitcnt lgkmcnt(0)
	s_mul_i32 s3, s15, s7
	s_mul_hi_u32 s7, s15, s6
	s_mul_i32 s6, s15, s6
	s_add_i32 s7, s7, s3
	s_ashr_i32 s13, s12, 31
	s_lshl_b64 s[6:7], s[6:7], 2
	v_cmp_gt_i64_e32 vcc_lo, s[12:13], v[0:1]
	s_add_u32 s4, s4, s6
	s_addc_u32 s5, s5, s7
	s_mov_b32 s3, 0
	s_load_b32 s4, s[4:5], 0x0
	s_waitcnt lgkmcnt(0)
	v_cmp_neq_f32_e64 s5, s4, 0
	s_delay_alu instid0(VALU_DEP_1) | instskip(NEXT) | instid1(SALU_CYCLE_1)
	s_and_b32 s5, vcc_lo, s5
	s_and_saveexec_b32 s6, s5
	s_cbranch_execz .LBB73_2
; %bb.1:
	s_mov_b32 s2, s15
	v_lshlrev_b64 v[0:1], 2, v[0:1]
	s_lshl_b64 s[6:7], s[2:3], 3
	s_delay_alu instid0(SALU_CYCLE_1)
	s_add_u32 s2, s8, s6
	s_addc_u32 s3, s9, s7
	s_lshl_b64 s[10:11], s[10:11], 2
	s_load_b64 s[8:9], s[2:3], 0x0
	s_load_b128 s[0:3], s[0:1], 0x30
	s_waitcnt lgkmcnt(0)
	s_add_u32 s5, s10, s8
	s_addc_u32 s8, s11, s9
	s_add_u32 s0, s0, s6
	s_addc_u32 s1, s1, s7
	s_lshl_b64 s[2:3], s[2:3], 2
	s_load_b64 s[0:1], s[0:1], 0x0
	v_add_co_u32 v2, vcc_lo, s5, v0
	v_add_co_ci_u32_e32 v3, vcc_lo, s8, v1, vcc_lo
	s_waitcnt lgkmcnt(0)
	s_add_u32 s0, s2, s0
	s_addc_u32 s1, s3, s1
	v_add_co_u32 v0, vcc_lo, s0, v0
	v_add_co_ci_u32_e32 v1, vcc_lo, s1, v1, vcc_lo
	global_load_b32 v2, v[2:3], off
	global_load_b32 v3, v[0:1], off
	s_waitcnt vmcnt(0)
	v_fmac_f32_e32 v3, s4, v2
	global_store_b32 v[0:1], v3, off
.LBB73_2:
	s_nop 0
	s_sendmsg sendmsg(MSG_DEALLOC_VGPRS)
	s_endpgm
	.section	.rodata,"a",@progbits
	.p2align	6, 0x0
	.amdhsa_kernel _ZL26rocblas_haxpy_mod_8_kernelILi256EPKfPKS1_PKPfEviT0_lT1_llT2_lli
		.amdhsa_group_segment_fixed_size 0
		.amdhsa_private_segment_fixed_size 0
		.amdhsa_kernarg_size 76
		.amdhsa_user_sgpr_count 14
		.amdhsa_user_sgpr_dispatch_ptr 0
		.amdhsa_user_sgpr_queue_ptr 0
		.amdhsa_user_sgpr_kernarg_segment_ptr 1
		.amdhsa_user_sgpr_dispatch_id 0
		.amdhsa_user_sgpr_private_segment_size 0
		.amdhsa_wavefront_size32 1
		.amdhsa_uses_dynamic_stack 0
		.amdhsa_enable_private_segment 0
		.amdhsa_system_sgpr_workgroup_id_x 1
		.amdhsa_system_sgpr_workgroup_id_y 0
		.amdhsa_system_sgpr_workgroup_id_z 1
		.amdhsa_system_sgpr_workgroup_info 0
		.amdhsa_system_vgpr_workitem_id 0
		.amdhsa_next_free_vgpr 4
		.amdhsa_next_free_sgpr 16
		.amdhsa_reserve_vcc 1
		.amdhsa_float_round_mode_32 0
		.amdhsa_float_round_mode_16_64 0
		.amdhsa_float_denorm_mode_32 3
		.amdhsa_float_denorm_mode_16_64 3
		.amdhsa_dx10_clamp 1
		.amdhsa_ieee_mode 1
		.amdhsa_fp16_overflow 0
		.amdhsa_workgroup_processor_mode 1
		.amdhsa_memory_ordered 1
		.amdhsa_forward_progress 0
		.amdhsa_shared_vgpr_count 0
		.amdhsa_exception_fp_ieee_invalid_op 0
		.amdhsa_exception_fp_denorm_src 0
		.amdhsa_exception_fp_ieee_div_zero 0
		.amdhsa_exception_fp_ieee_overflow 0
		.amdhsa_exception_fp_ieee_underflow 0
		.amdhsa_exception_fp_ieee_inexact 0
		.amdhsa_exception_int_div_zero 0
	.end_amdhsa_kernel
	.section	.text._ZL26rocblas_haxpy_mod_8_kernelILi256EPKfPKS1_PKPfEviT0_lT1_llT2_lli,"axG",@progbits,_ZL26rocblas_haxpy_mod_8_kernelILi256EPKfPKS1_PKPfEviT0_lT1_llT2_lli,comdat
.Lfunc_end73:
	.size	_ZL26rocblas_haxpy_mod_8_kernelILi256EPKfPKS1_PKPfEviT0_lT1_llT2_lli, .Lfunc_end73-_ZL26rocblas_haxpy_mod_8_kernelILi256EPKfPKS1_PKPfEviT0_lT1_llT2_lli
                                        ; -- End function
	.section	.AMDGPU.csdata,"",@progbits
; Kernel info:
; codeLenInByte = 272
; NumSgprs: 18
; NumVgprs: 4
; ScratchSize: 0
; MemoryBound: 0
; FloatMode: 240
; IeeeMode: 1
; LDSByteSize: 0 bytes/workgroup (compile time only)
; SGPRBlocks: 2
; VGPRBlocks: 0
; NumSGPRsForWavesPerEU: 18
; NumVGPRsForWavesPerEU: 4
; Occupancy: 16
; WaveLimiterHint : 1
; COMPUTE_PGM_RSRC2:SCRATCH_EN: 0
; COMPUTE_PGM_RSRC2:USER_SGPR: 14
; COMPUTE_PGM_RSRC2:TRAP_HANDLER: 0
; COMPUTE_PGM_RSRC2:TGID_X_EN: 1
; COMPUTE_PGM_RSRC2:TGID_Y_EN: 0
; COMPUTE_PGM_RSRC2:TGID_Z_EN: 1
; COMPUTE_PGM_RSRC2:TIDIG_COMP_CNT: 0
	.section	.text._ZL26rocblas_haxpy_mlt_8_kernelILi256EDF16_PKPKfPKPfEviT0_lT1_llT2_lli,"axG",@progbits,_ZL26rocblas_haxpy_mlt_8_kernelILi256EDF16_PKPKfPKPfEviT0_lT1_llT2_lli,comdat
	.globl	_ZL26rocblas_haxpy_mlt_8_kernelILi256EDF16_PKPKfPKPfEviT0_lT1_llT2_lli ; -- Begin function _ZL26rocblas_haxpy_mlt_8_kernelILi256EDF16_PKPKfPKPfEviT0_lT1_llT2_lli
	.p2align	8
	.type	_ZL26rocblas_haxpy_mlt_8_kernelILi256EDF16_PKPKfPKPfEviT0_lT1_llT2_lli,@function
_ZL26rocblas_haxpy_mlt_8_kernelILi256EDF16_PKPKfPKPfEviT0_lT1_llT2_lli: ; @_ZL26rocblas_haxpy_mlt_8_kernelILi256EDF16_PKPKfPKPfEviT0_lT1_llT2_lli
; %bb.0:
	s_load_b64 s[2:3], s[0:1], 0x0
	s_waitcnt lgkmcnt(0)
	s_pack_ll_b32_b16 s5, s3, s3
	s_delay_alu instid0(SALU_CYCLE_1) | instskip(NEXT) | instid1(SALU_CYCLE_1)
	s_and_b32 s5, s5, 0x7fff
	s_cmp_eq_u32 s5, 0
	s_cbranch_scc1 .LBB74_3
; %bb.1:
	v_lshl_or_b32 v0, s14, 8, v0
	v_mov_b32_e32 v1, 0
	s_ashr_i32 s7, s2, 31
	s_mov_b32 s6, s2
	s_mov_b32 s2, exec_lo
	s_delay_alu instid0(VALU_DEP_1) | instskip(NEXT) | instid1(VALU_DEP_1)
	v_lshlrev_b64 v[0:1], 3, v[0:1]
	v_cmpx_gt_i64_e64 s[6:7], v[0:1]
	s_cbranch_execz .LBB74_3
; %bb.2:
	s_load_b128 s[8:11], s[0:1], 0x10
	s_mov_b32 s4, s15
	s_mov_b32 s5, 0
	v_lshlrev_b64 v[0:1], 2, v[0:1]
	s_lshl_b64 s[12:13], s[4:5], 3
	s_load_b128 s[4:7], s[0:1], 0x28
	s_waitcnt lgkmcnt(0)
	s_add_u32 s0, s8, s12
	s_addc_u32 s1, s9, s13
	s_lshl_b64 s[8:9], s[10:11], 2
	s_load_b64 s[0:1], s[0:1], 0x0
	s_waitcnt lgkmcnt(0)
	s_add_u32 s2, s8, s0
	s_addc_u32 s8, s9, s1
	s_add_u32 s0, s4, s12
	s_addc_u32 s1, s5, s13
	s_lshl_b64 s[4:5], s[6:7], 2
	s_load_b64 s[0:1], s[0:1], 0x0
	v_add_co_u32 v2, vcc_lo, s2, v0
	v_add_co_ci_u32_e32 v3, vcc_lo, s8, v1, vcc_lo
	s_waitcnt lgkmcnt(0)
	s_add_u32 s0, s4, s0
	s_addc_u32 s1, s5, s1
	v_add_co_u32 v8, vcc_lo, s0, v0
	v_add_co_ci_u32_e32 v9, vcc_lo, s1, v1, vcc_lo
	global_load_b128 v[0:3], v[2:3], off
	global_load_b128 v[4:7], v[8:9], off
	s_waitcnt vmcnt(0)
	v_pk_fma_f16 v3, s3, v3, v7 op_sel_hi:[0,1,1]
	v_pk_fma_f16 v2, s3, v2, v6 op_sel_hi:[0,1,1]
	;; [unrolled: 1-line block ×4, first 2 shown]
	global_store_b128 v[8:9], v[0:3], off
.LBB74_3:
	s_nop 0
	s_sendmsg sendmsg(MSG_DEALLOC_VGPRS)
	s_endpgm
	.section	.rodata,"a",@progbits
	.p2align	6, 0x0
	.amdhsa_kernel _ZL26rocblas_haxpy_mlt_8_kernelILi256EDF16_PKPKfPKPfEviT0_lT1_llT2_lli
		.amdhsa_group_segment_fixed_size 0
		.amdhsa_private_segment_fixed_size 0
		.amdhsa_kernarg_size 68
		.amdhsa_user_sgpr_count 14
		.amdhsa_user_sgpr_dispatch_ptr 0
		.amdhsa_user_sgpr_queue_ptr 0
		.amdhsa_user_sgpr_kernarg_segment_ptr 1
		.amdhsa_user_sgpr_dispatch_id 0
		.amdhsa_user_sgpr_private_segment_size 0
		.amdhsa_wavefront_size32 1
		.amdhsa_uses_dynamic_stack 0
		.amdhsa_enable_private_segment 0
		.amdhsa_system_sgpr_workgroup_id_x 1
		.amdhsa_system_sgpr_workgroup_id_y 0
		.amdhsa_system_sgpr_workgroup_id_z 1
		.amdhsa_system_sgpr_workgroup_info 0
		.amdhsa_system_vgpr_workitem_id 0
		.amdhsa_next_free_vgpr 10
		.amdhsa_next_free_sgpr 16
		.amdhsa_reserve_vcc 1
		.amdhsa_float_round_mode_32 0
		.amdhsa_float_round_mode_16_64 0
		.amdhsa_float_denorm_mode_32 3
		.amdhsa_float_denorm_mode_16_64 3
		.amdhsa_dx10_clamp 1
		.amdhsa_ieee_mode 1
		.amdhsa_fp16_overflow 0
		.amdhsa_workgroup_processor_mode 1
		.amdhsa_memory_ordered 1
		.amdhsa_forward_progress 0
		.amdhsa_shared_vgpr_count 0
		.amdhsa_exception_fp_ieee_invalid_op 0
		.amdhsa_exception_fp_denorm_src 0
		.amdhsa_exception_fp_ieee_div_zero 0
		.amdhsa_exception_fp_ieee_overflow 0
		.amdhsa_exception_fp_ieee_underflow 0
		.amdhsa_exception_fp_ieee_inexact 0
		.amdhsa_exception_int_div_zero 0
	.end_amdhsa_kernel
	.section	.text._ZL26rocblas_haxpy_mlt_8_kernelILi256EDF16_PKPKfPKPfEviT0_lT1_llT2_lli,"axG",@progbits,_ZL26rocblas_haxpy_mlt_8_kernelILi256EDF16_PKPKfPKPfEviT0_lT1_llT2_lli,comdat
.Lfunc_end74:
	.size	_ZL26rocblas_haxpy_mlt_8_kernelILi256EDF16_PKPKfPKPfEviT0_lT1_llT2_lli, .Lfunc_end74-_ZL26rocblas_haxpy_mlt_8_kernelILi256EDF16_PKPKfPKPfEviT0_lT1_llT2_lli
                                        ; -- End function
	.section	.AMDGPU.csdata,"",@progbits
; Kernel info:
; codeLenInByte = 284
; NumSgprs: 18
; NumVgprs: 10
; ScratchSize: 0
; MemoryBound: 0
; FloatMode: 240
; IeeeMode: 1
; LDSByteSize: 0 bytes/workgroup (compile time only)
; SGPRBlocks: 2
; VGPRBlocks: 1
; NumSGPRsForWavesPerEU: 18
; NumVGPRsForWavesPerEU: 10
; Occupancy: 16
; WaveLimiterHint : 1
; COMPUTE_PGM_RSRC2:SCRATCH_EN: 0
; COMPUTE_PGM_RSRC2:USER_SGPR: 14
; COMPUTE_PGM_RSRC2:TRAP_HANDLER: 0
; COMPUTE_PGM_RSRC2:TGID_X_EN: 1
; COMPUTE_PGM_RSRC2:TGID_Y_EN: 0
; COMPUTE_PGM_RSRC2:TGID_Z_EN: 1
; COMPUTE_PGM_RSRC2:TIDIG_COMP_CNT: 0
	.section	.text._ZL26rocblas_haxpy_mod_8_kernelILi256EfPKPKfPKPfEviT0_lT1_llT2_lli,"axG",@progbits,_ZL26rocblas_haxpy_mod_8_kernelILi256EfPKPKfPKPfEviT0_lT1_llT2_lli,comdat
	.globl	_ZL26rocblas_haxpy_mod_8_kernelILi256EfPKPKfPKPfEviT0_lT1_llT2_lli ; -- Begin function _ZL26rocblas_haxpy_mod_8_kernelILi256EfPKPKfPKPfEviT0_lT1_llT2_lli
	.p2align	8
	.type	_ZL26rocblas_haxpy_mod_8_kernelILi256EfPKPKfPKPfEviT0_lT1_llT2_lli,@function
_ZL26rocblas_haxpy_mod_8_kernelILi256EfPKPKfPKPfEviT0_lT1_llT2_lli: ; @_ZL26rocblas_haxpy_mod_8_kernelILi256EfPKPKfPKPfEviT0_lT1_llT2_lli
; %bb.0:
	s_load_b64 s[2:3], s[0:1], 0x0
	v_mov_b32_e32 v1, 0
	v_lshl_or_b32 v0, s14, 8, v0
	s_mov_b32 s5, 0
	s_waitcnt lgkmcnt(0)
	s_ashr_i32 s7, s2, 31
	s_mov_b32 s6, s2
	v_cmp_neq_f32_e64 s2, s3, 0
	v_cmp_gt_i64_e32 vcc_lo, s[6:7], v[0:1]
	s_delay_alu instid0(VALU_DEP_2) | instskip(NEXT) | instid1(SALU_CYCLE_1)
	s_and_b32 s2, s2, vcc_lo
	s_and_saveexec_b32 s6, s2
	s_cbranch_execz .LBB75_2
; %bb.1:
	s_load_b128 s[8:11], s[0:1], 0x10
	s_mov_b32 s4, s15
	v_lshlrev_b64 v[0:1], 2, v[0:1]
	s_lshl_b64 s[12:13], s[4:5], 3
	s_load_b128 s[4:7], s[0:1], 0x28
	s_waitcnt lgkmcnt(0)
	s_add_u32 s0, s8, s12
	s_addc_u32 s1, s9, s13
	s_lshl_b64 s[8:9], s[10:11], 2
	s_load_b64 s[0:1], s[0:1], 0x0
	s_waitcnt lgkmcnt(0)
	s_add_u32 s2, s8, s0
	s_addc_u32 s8, s9, s1
	s_add_u32 s0, s4, s12
	s_addc_u32 s1, s5, s13
	s_lshl_b64 s[4:5], s[6:7], 2
	s_load_b64 s[0:1], s[0:1], 0x0
	v_add_co_u32 v2, vcc_lo, s2, v0
	v_add_co_ci_u32_e32 v3, vcc_lo, s8, v1, vcc_lo
	s_waitcnt lgkmcnt(0)
	s_add_u32 s0, s4, s0
	s_addc_u32 s1, s5, s1
	v_add_co_u32 v0, vcc_lo, s0, v0
	v_add_co_ci_u32_e32 v1, vcc_lo, s1, v1, vcc_lo
	global_load_b32 v2, v[2:3], off
	global_load_b32 v3, v[0:1], off
	s_waitcnt vmcnt(0)
	v_fmac_f32_e32 v3, s3, v2
	global_store_b32 v[0:1], v3, off
.LBB75_2:
	s_nop 0
	s_sendmsg sendmsg(MSG_DEALLOC_VGPRS)
	s_endpgm
	.section	.rodata,"a",@progbits
	.p2align	6, 0x0
	.amdhsa_kernel _ZL26rocblas_haxpy_mod_8_kernelILi256EfPKPKfPKPfEviT0_lT1_llT2_lli
		.amdhsa_group_segment_fixed_size 0
		.amdhsa_private_segment_fixed_size 0
		.amdhsa_kernarg_size 68
		.amdhsa_user_sgpr_count 14
		.amdhsa_user_sgpr_dispatch_ptr 0
		.amdhsa_user_sgpr_queue_ptr 0
		.amdhsa_user_sgpr_kernarg_segment_ptr 1
		.amdhsa_user_sgpr_dispatch_id 0
		.amdhsa_user_sgpr_private_segment_size 0
		.amdhsa_wavefront_size32 1
		.amdhsa_uses_dynamic_stack 0
		.amdhsa_enable_private_segment 0
		.amdhsa_system_sgpr_workgroup_id_x 1
		.amdhsa_system_sgpr_workgroup_id_y 0
		.amdhsa_system_sgpr_workgroup_id_z 1
		.amdhsa_system_sgpr_workgroup_info 0
		.amdhsa_system_vgpr_workitem_id 0
		.amdhsa_next_free_vgpr 4
		.amdhsa_next_free_sgpr 16
		.amdhsa_reserve_vcc 1
		.amdhsa_float_round_mode_32 0
		.amdhsa_float_round_mode_16_64 0
		.amdhsa_float_denorm_mode_32 3
		.amdhsa_float_denorm_mode_16_64 3
		.amdhsa_dx10_clamp 1
		.amdhsa_ieee_mode 1
		.amdhsa_fp16_overflow 0
		.amdhsa_workgroup_processor_mode 1
		.amdhsa_memory_ordered 1
		.amdhsa_forward_progress 0
		.amdhsa_shared_vgpr_count 0
		.amdhsa_exception_fp_ieee_invalid_op 0
		.amdhsa_exception_fp_denorm_src 0
		.amdhsa_exception_fp_ieee_div_zero 0
		.amdhsa_exception_fp_ieee_overflow 0
		.amdhsa_exception_fp_ieee_underflow 0
		.amdhsa_exception_fp_ieee_inexact 0
		.amdhsa_exception_int_div_zero 0
	.end_amdhsa_kernel
	.section	.text._ZL26rocblas_haxpy_mod_8_kernelILi256EfPKPKfPKPfEviT0_lT1_llT2_lli,"axG",@progbits,_ZL26rocblas_haxpy_mod_8_kernelILi256EfPKPKfPKPfEviT0_lT1_llT2_lli,comdat
.Lfunc_end75:
	.size	_ZL26rocblas_haxpy_mod_8_kernelILi256EfPKPKfPKPfEviT0_lT1_llT2_lli, .Lfunc_end75-_ZL26rocblas_haxpy_mod_8_kernelILi256EfPKPKfPKPfEviT0_lT1_llT2_lli
                                        ; -- End function
	.section	.AMDGPU.csdata,"",@progbits
; Kernel info:
; codeLenInByte = 232
; NumSgprs: 18
; NumVgprs: 4
; ScratchSize: 0
; MemoryBound: 0
; FloatMode: 240
; IeeeMode: 1
; LDSByteSize: 0 bytes/workgroup (compile time only)
; SGPRBlocks: 2
; VGPRBlocks: 0
; NumSGPRsForWavesPerEU: 18
; NumVGPRsForWavesPerEU: 4
; Occupancy: 16
; WaveLimiterHint : 1
; COMPUTE_PGM_RSRC2:SCRATCH_EN: 0
; COMPUTE_PGM_RSRC2:USER_SGPR: 14
; COMPUTE_PGM_RSRC2:TRAP_HANDLER: 0
; COMPUTE_PGM_RSRC2:TGID_X_EN: 1
; COMPUTE_PGM_RSRC2:TGID_Y_EN: 0
; COMPUTE_PGM_RSRC2:TGID_Z_EN: 1
; COMPUTE_PGM_RSRC2:TIDIG_COMP_CNT: 0
	.section	.text._ZL22rocblas_saxpy_2_kernelILi256EfPKfPKS1_PKPfEviT1_lT2_llT3_lli,"axG",@progbits,_ZL22rocblas_saxpy_2_kernelILi256EfPKfPKS1_PKPfEviT1_lT2_llT3_lli,comdat
	.globl	_ZL22rocblas_saxpy_2_kernelILi256EfPKfPKS1_PKPfEviT1_lT2_llT3_lli ; -- Begin function _ZL22rocblas_saxpy_2_kernelILi256EfPKfPKS1_PKPfEviT1_lT2_llT3_lli
	.p2align	8
	.type	_ZL22rocblas_saxpy_2_kernelILi256EfPKfPKS1_PKPfEviT1_lT2_llT3_lli,@function
_ZL22rocblas_saxpy_2_kernelILi256EfPKfPKS1_PKPfEviT1_lT2_llT3_lli: ; @_ZL22rocblas_saxpy_2_kernelILi256EfPKfPKS1_PKPfEviT1_lT2_llT3_lli
; %bb.0:
	s_load_b128 s[4:7], s[0:1], 0x8
	s_waitcnt lgkmcnt(0)
	s_mul_i32 s3, s15, s7
	s_mul_hi_u32 s7, s15, s6
	s_mul_i32 s6, s15, s6
	s_add_i32 s7, s7, s3
	s_delay_alu instid0(SALU_CYCLE_1) | instskip(NEXT) | instid1(SALU_CYCLE_1)
	s_lshl_b64 s[6:7], s[6:7], 2
	s_add_u32 s4, s4, s6
	s_addc_u32 s5, s5, s7
	s_load_b32 s4, s[4:5], 0x0
	s_waitcnt lgkmcnt(0)
	v_cmp_eq_f32_e64 s3, s4, 0
	s_delay_alu instid0(VALU_DEP_1)
	s_and_b32 vcc_lo, exec_lo, s3
	s_mov_b32 s3, 0
	s_cbranch_vccnz .LBB76_5
; %bb.1:
	s_clause 0x1
	s_load_b128 s[8:11], s[0:1], 0x18
	s_load_b32 s5, s[0:1], 0x0
	s_mov_b32 s2, s15
	v_dual_mov_b32 v3, 0 :: v_dual_lshlrev_b32 v0, 1, v0
	s_lshl_b64 s[6:7], s[2:3], 3
	s_delay_alu instid0(VALU_DEP_1) | instskip(NEXT) | instid1(VALU_DEP_1)
	v_lshl_or_b32 v2, s14, 9, v0
	v_lshlrev_b64 v[0:1], 2, v[2:3]
	s_waitcnt lgkmcnt(0)
	s_add_u32 s2, s8, s6
	s_addc_u32 s3, s9, s7
	s_mov_b32 s8, exec_lo
	s_load_b64 s[2:3], s[2:3], 0x0
	s_load_b128 s[16:19], s[0:1], 0x30
	s_lshl_b64 s[0:1], s[10:11], 2
	s_waitcnt lgkmcnt(0)
	s_add_u32 s2, s2, s0
	s_addc_u32 s3, s3, s1
	s_add_u32 s0, s16, s6
	s_addc_u32 s1, s17, s7
	s_lshl_b64 s[6:7], s[18:19], 2
	s_load_b64 s[0:1], s[0:1], 0x0
	s_waitcnt lgkmcnt(0)
	s_add_u32 s6, s0, s6
	s_addc_u32 s7, s1, s7
	s_add_i32 s0, s5, -1
	s_delay_alu instid0(SALU_CYCLE_1) | instskip(NEXT) | instid1(SALU_CYCLE_1)
	s_ashr_i32 s1, s0, 31
	v_cmpx_gt_i64_e64 s[0:1], v[2:3]
	s_cbranch_execz .LBB76_3
; %bb.2:
	v_add_co_u32 v4, vcc_lo, s6, v0
	v_add_co_ci_u32_e32 v5, vcc_lo, s7, v1, vcc_lo
	v_add_co_u32 v6, vcc_lo, s2, v0
	v_add_co_ci_u32_e32 v7, vcc_lo, s3, v1, vcc_lo
	global_load_b64 v[8:9], v[4:5], off
	global_load_b32 v10, v[6:7], off
	s_waitcnt vmcnt(0)
	v_fma_f32 v8, s4, v10, v8
	global_store_b32 v[4:5], v8, off
	global_load_b32 v6, v[6:7], off offset:4
	s_waitcnt vmcnt(0)
	v_fmac_f32_e32 v9, s4, v6
	global_store_b32 v[4:5], v9, off offset:4
.LBB76_3:
	s_or_b32 exec_lo, exec_lo, s8
	v_cmp_eq_u64_e32 vcc_lo, s[0:1], v[2:3]
	s_bitcmp1_b32 s5, 0
	s_cselect_b32 s0, -1, 0
	s_delay_alu instid0(SALU_CYCLE_1) | instskip(NEXT) | instid1(SALU_CYCLE_1)
	s_and_b32 s0, s0, vcc_lo
	s_and_saveexec_b32 s1, s0
	s_cbranch_execz .LBB76_5
; %bb.4:
	v_add_co_u32 v2, vcc_lo, s6, v0
	v_add_co_ci_u32_e32 v3, vcc_lo, s7, v1, vcc_lo
	v_add_co_u32 v0, vcc_lo, s2, v0
	v_add_co_ci_u32_e32 v1, vcc_lo, s3, v1, vcc_lo
	global_load_b32 v4, v[2:3], off
	global_load_b32 v0, v[0:1], off
	s_waitcnt vmcnt(0)
	v_fmac_f32_e32 v4, s4, v0
	global_store_b32 v[2:3], v4, off
.LBB76_5:
	s_nop 0
	s_sendmsg sendmsg(MSG_DEALLOC_VGPRS)
	s_endpgm
	.section	.rodata,"a",@progbits
	.p2align	6, 0x0
	.amdhsa_kernel _ZL22rocblas_saxpy_2_kernelILi256EfPKfPKS1_PKPfEviT1_lT2_llT3_lli
		.amdhsa_group_segment_fixed_size 0
		.amdhsa_private_segment_fixed_size 0
		.amdhsa_kernarg_size 76
		.amdhsa_user_sgpr_count 14
		.amdhsa_user_sgpr_dispatch_ptr 0
		.amdhsa_user_sgpr_queue_ptr 0
		.amdhsa_user_sgpr_kernarg_segment_ptr 1
		.amdhsa_user_sgpr_dispatch_id 0
		.amdhsa_user_sgpr_private_segment_size 0
		.amdhsa_wavefront_size32 1
		.amdhsa_uses_dynamic_stack 0
		.amdhsa_enable_private_segment 0
		.amdhsa_system_sgpr_workgroup_id_x 1
		.amdhsa_system_sgpr_workgroup_id_y 0
		.amdhsa_system_sgpr_workgroup_id_z 1
		.amdhsa_system_sgpr_workgroup_info 0
		.amdhsa_system_vgpr_workitem_id 0
		.amdhsa_next_free_vgpr 11
		.amdhsa_next_free_sgpr 20
		.amdhsa_reserve_vcc 1
		.amdhsa_float_round_mode_32 0
		.amdhsa_float_round_mode_16_64 0
		.amdhsa_float_denorm_mode_32 3
		.amdhsa_float_denorm_mode_16_64 3
		.amdhsa_dx10_clamp 1
		.amdhsa_ieee_mode 1
		.amdhsa_fp16_overflow 0
		.amdhsa_workgroup_processor_mode 1
		.amdhsa_memory_ordered 1
		.amdhsa_forward_progress 0
		.amdhsa_shared_vgpr_count 0
		.amdhsa_exception_fp_ieee_invalid_op 0
		.amdhsa_exception_fp_denorm_src 0
		.amdhsa_exception_fp_ieee_div_zero 0
		.amdhsa_exception_fp_ieee_overflow 0
		.amdhsa_exception_fp_ieee_underflow 0
		.amdhsa_exception_fp_ieee_inexact 0
		.amdhsa_exception_int_div_zero 0
	.end_amdhsa_kernel
	.section	.text._ZL22rocblas_saxpy_2_kernelILi256EfPKfPKS1_PKPfEviT1_lT2_llT3_lli,"axG",@progbits,_ZL22rocblas_saxpy_2_kernelILi256EfPKfPKS1_PKPfEviT1_lT2_llT3_lli,comdat
.Lfunc_end76:
	.size	_ZL22rocblas_saxpy_2_kernelILi256EfPKfPKS1_PKPfEviT1_lT2_llT3_lli, .Lfunc_end76-_ZL22rocblas_saxpy_2_kernelILi256EfPKfPKS1_PKPfEviT1_lT2_llT3_lli
                                        ; -- End function
	.section	.AMDGPU.csdata,"",@progbits
; Kernel info:
; codeLenInByte = 424
; NumSgprs: 22
; NumVgprs: 11
; ScratchSize: 0
; MemoryBound: 0
; FloatMode: 240
; IeeeMode: 1
; LDSByteSize: 0 bytes/workgroup (compile time only)
; SGPRBlocks: 2
; VGPRBlocks: 1
; NumSGPRsForWavesPerEU: 22
; NumVGPRsForWavesPerEU: 11
; Occupancy: 16
; WaveLimiterHint : 1
; COMPUTE_PGM_RSRC2:SCRATCH_EN: 0
; COMPUTE_PGM_RSRC2:USER_SGPR: 14
; COMPUTE_PGM_RSRC2:TRAP_HANDLER: 0
; COMPUTE_PGM_RSRC2:TGID_X_EN: 1
; COMPUTE_PGM_RSRC2:TGID_Y_EN: 0
; COMPUTE_PGM_RSRC2:TGID_Z_EN: 1
; COMPUTE_PGM_RSRC2:TIDIG_COMP_CNT: 0
	.section	.text._ZL22rocblas_saxpy_2_kernelILi256EffPKPKfPKPfEviT1_lT2_llT3_lli,"axG",@progbits,_ZL22rocblas_saxpy_2_kernelILi256EffPKPKfPKPfEviT1_lT2_llT3_lli,comdat
	.globl	_ZL22rocblas_saxpy_2_kernelILi256EffPKPKfPKPfEviT1_lT2_llT3_lli ; -- Begin function _ZL22rocblas_saxpy_2_kernelILi256EffPKPKfPKPfEviT1_lT2_llT3_lli
	.p2align	8
	.type	_ZL22rocblas_saxpy_2_kernelILi256EffPKPKfPKPfEviT1_lT2_llT3_lli,@function
_ZL22rocblas_saxpy_2_kernelILi256EffPKPKfPKPfEviT1_lT2_llT3_lli: ; @_ZL22rocblas_saxpy_2_kernelILi256EffPKPKfPKPfEviT1_lT2_llT3_lli
; %bb.0:
	s_load_b64 s[2:3], s[0:1], 0x0
	s_waitcnt lgkmcnt(0)
	v_cmp_eq_f32_e64 s5, s3, 0
	s_delay_alu instid0(VALU_DEP_1)
	s_and_b32 vcc_lo, exec_lo, s5
	s_mov_b32 s5, 0
	s_cbranch_vccnz .LBB77_5
; %bb.1:
	s_clause 0x1
	s_load_b128 s[8:11], s[0:1], 0x10
	s_load_b128 s[16:19], s[0:1], 0x28
	s_mov_b32 s4, s15
	v_dual_mov_b32 v3, 0 :: v_dual_lshlrev_b32 v0, 1, v0
	s_lshl_b64 s[6:7], s[4:5], 3
	s_delay_alu instid0(VALU_DEP_1) | instskip(NEXT) | instid1(VALU_DEP_1)
	v_lshl_or_b32 v2, s14, 9, v0
	v_lshlrev_b64 v[0:1], 2, v[2:3]
	s_waitcnt lgkmcnt(0)
	s_add_u32 s0, s8, s6
	s_addc_u32 s1, s9, s7
	s_lshl_b64 s[4:5], s[10:11], 2
	s_load_b64 s[0:1], s[0:1], 0x0
	s_mov_b32 s8, exec_lo
	s_waitcnt lgkmcnt(0)
	s_add_u32 s4, s0, s4
	s_addc_u32 s5, s1, s5
	s_add_u32 s0, s16, s6
	s_addc_u32 s1, s17, s7
	s_lshl_b64 s[6:7], s[18:19], 2
	s_load_b64 s[0:1], s[0:1], 0x0
	s_waitcnt lgkmcnt(0)
	s_add_u32 s6, s0, s6
	s_addc_u32 s7, s1, s7
	s_add_i32 s0, s2, -1
	s_delay_alu instid0(SALU_CYCLE_1) | instskip(NEXT) | instid1(SALU_CYCLE_1)
	s_ashr_i32 s1, s0, 31
	v_cmpx_gt_i64_e64 s[0:1], v[2:3]
	s_cbranch_execz .LBB77_3
; %bb.2:
	v_add_co_u32 v4, vcc_lo, s6, v0
	v_add_co_ci_u32_e32 v5, vcc_lo, s7, v1, vcc_lo
	v_add_co_u32 v6, vcc_lo, s4, v0
	v_add_co_ci_u32_e32 v7, vcc_lo, s5, v1, vcc_lo
	global_load_b64 v[8:9], v[4:5], off
	global_load_b32 v10, v[6:7], off
	s_waitcnt vmcnt(0)
	v_fma_f32 v8, s3, v10, v8
	global_store_b32 v[4:5], v8, off
	global_load_b32 v6, v[6:7], off offset:4
	s_waitcnt vmcnt(0)
	v_fmac_f32_e32 v9, s3, v6
	global_store_b32 v[4:5], v9, off offset:4
.LBB77_3:
	s_or_b32 exec_lo, exec_lo, s8
	v_cmp_eq_u64_e32 vcc_lo, s[0:1], v[2:3]
	s_bitcmp1_b32 s2, 0
	s_cselect_b32 s0, -1, 0
	s_delay_alu instid0(SALU_CYCLE_1) | instskip(NEXT) | instid1(SALU_CYCLE_1)
	s_and_b32 s0, s0, vcc_lo
	s_and_saveexec_b32 s1, s0
	s_cbranch_execz .LBB77_5
; %bb.4:
	v_add_co_u32 v2, vcc_lo, s6, v0
	v_add_co_ci_u32_e32 v3, vcc_lo, s7, v1, vcc_lo
	v_add_co_u32 v0, vcc_lo, s4, v0
	v_add_co_ci_u32_e32 v1, vcc_lo, s5, v1, vcc_lo
	global_load_b32 v4, v[2:3], off
	global_load_b32 v0, v[0:1], off
	s_waitcnt vmcnt(0)
	v_fmac_f32_e32 v4, s3, v0
	global_store_b32 v[2:3], v4, off
.LBB77_5:
	s_nop 0
	s_sendmsg sendmsg(MSG_DEALLOC_VGPRS)
	s_endpgm
	.section	.rodata,"a",@progbits
	.p2align	6, 0x0
	.amdhsa_kernel _ZL22rocblas_saxpy_2_kernelILi256EffPKPKfPKPfEviT1_lT2_llT3_lli
		.amdhsa_group_segment_fixed_size 0
		.amdhsa_private_segment_fixed_size 0
		.amdhsa_kernarg_size 68
		.amdhsa_user_sgpr_count 14
		.amdhsa_user_sgpr_dispatch_ptr 0
		.amdhsa_user_sgpr_queue_ptr 0
		.amdhsa_user_sgpr_kernarg_segment_ptr 1
		.amdhsa_user_sgpr_dispatch_id 0
		.amdhsa_user_sgpr_private_segment_size 0
		.amdhsa_wavefront_size32 1
		.amdhsa_uses_dynamic_stack 0
		.amdhsa_enable_private_segment 0
		.amdhsa_system_sgpr_workgroup_id_x 1
		.amdhsa_system_sgpr_workgroup_id_y 0
		.amdhsa_system_sgpr_workgroup_id_z 1
		.amdhsa_system_sgpr_workgroup_info 0
		.amdhsa_system_vgpr_workitem_id 0
		.amdhsa_next_free_vgpr 11
		.amdhsa_next_free_sgpr 20
		.amdhsa_reserve_vcc 1
		.amdhsa_float_round_mode_32 0
		.amdhsa_float_round_mode_16_64 0
		.amdhsa_float_denorm_mode_32 3
		.amdhsa_float_denorm_mode_16_64 3
		.amdhsa_dx10_clamp 1
		.amdhsa_ieee_mode 1
		.amdhsa_fp16_overflow 0
		.amdhsa_workgroup_processor_mode 1
		.amdhsa_memory_ordered 1
		.amdhsa_forward_progress 0
		.amdhsa_shared_vgpr_count 0
		.amdhsa_exception_fp_ieee_invalid_op 0
		.amdhsa_exception_fp_denorm_src 0
		.amdhsa_exception_fp_ieee_div_zero 0
		.amdhsa_exception_fp_ieee_overflow 0
		.amdhsa_exception_fp_ieee_underflow 0
		.amdhsa_exception_fp_ieee_inexact 0
		.amdhsa_exception_int_div_zero 0
	.end_amdhsa_kernel
	.section	.text._ZL22rocblas_saxpy_2_kernelILi256EffPKPKfPKPfEviT1_lT2_llT3_lli,"axG",@progbits,_ZL22rocblas_saxpy_2_kernelILi256EffPKPKfPKPfEviT1_lT2_llT3_lli,comdat
.Lfunc_end77:
	.size	_ZL22rocblas_saxpy_2_kernelILi256EffPKPKfPKPfEviT1_lT2_llT3_lli, .Lfunc_end77-_ZL22rocblas_saxpy_2_kernelILi256EffPKPKfPKPfEviT1_lT2_llT3_lli
                                        ; -- End function
	.section	.AMDGPU.csdata,"",@progbits
; Kernel info:
; codeLenInByte = 372
; NumSgprs: 22
; NumVgprs: 11
; ScratchSize: 0
; MemoryBound: 0
; FloatMode: 240
; IeeeMode: 1
; LDSByteSize: 0 bytes/workgroup (compile time only)
; SGPRBlocks: 2
; VGPRBlocks: 1
; NumSGPRsForWavesPerEU: 22
; NumVGPRsForWavesPerEU: 11
; Occupancy: 16
; WaveLimiterHint : 1
; COMPUTE_PGM_RSRC2:SCRATCH_EN: 0
; COMPUTE_PGM_RSRC2:USER_SGPR: 14
; COMPUTE_PGM_RSRC2:TRAP_HANDLER: 0
; COMPUTE_PGM_RSRC2:TGID_X_EN: 1
; COMPUTE_PGM_RSRC2:TGID_Y_EN: 0
; COMPUTE_PGM_RSRC2:TGID_Z_EN: 1
; COMPUTE_PGM_RSRC2:TIDIG_COMP_CNT: 0
	.section	.text._ZL27rocblas_axpy_kernel_batchedIiLi128ELi8EfPKfPKS1_PKPfEviT3_lT4_lT_lT5_lS9_li,"axG",@progbits,_ZL27rocblas_axpy_kernel_batchedIiLi128ELi8EfPKfPKS1_PKPfEviT3_lT4_lT_lT5_lS9_li,comdat
	.globl	_ZL27rocblas_axpy_kernel_batchedIiLi128ELi8EfPKfPKS1_PKPfEviT3_lT4_lT_lT5_lS9_li ; -- Begin function _ZL27rocblas_axpy_kernel_batchedIiLi128ELi8EfPKfPKS1_PKPfEviT3_lT4_lT_lT5_lS9_li
	.p2align	8
	.type	_ZL27rocblas_axpy_kernel_batchedIiLi128ELi8EfPKfPKS1_PKPfEviT3_lT4_lT_lT5_lS9_li,@function
_ZL27rocblas_axpy_kernel_batchedIiLi128ELi8EfPKfPKS1_PKPfEviT3_lT4_lT_lT5_lS9_li: ; @_ZL27rocblas_axpy_kernel_batchedIiLi128ELi8EfPKfPKS1_PKPfEviT3_lT4_lT_lT5_lS9_li
; %bb.0:
	s_load_b32 s2, s[0:1], 0x0
	v_dual_mov_b32 v6, 0 :: v_dual_and_b32 v1, 0x3ff, v0
	s_delay_alu instid0(VALU_DEP_1)
	v_lshl_add_u32 v5, s14, 7, v1
	s_waitcnt lgkmcnt(0)
	s_ashr_i32 s3, s2, 31
	s_delay_alu instid0(VALU_DEP_1) | instid1(SALU_CYCLE_1)
	v_cmp_gt_i64_e32 vcc_lo, s[2:3], v[5:6]
	s_and_saveexec_b32 s2, vcc_lo
	s_cbranch_execz .LBB78_13
; %bb.1:
	s_clause 0x3
	s_load_b32 s13, s[0:1], 0x28
	s_load_b32 s14, s[0:1], 0x48
	s_load_b128 s[8:11], s[0:1], 0x38
	s_load_b32 s12, s[0:1], 0x58
	v_bfe_u32 v0, v0, 10, 10
	s_load_b256 s[0:7], s[0:1], 0x8
	s_waitcnt lgkmcnt(0)
	v_mad_u64_u32 v[1:2], null, s13, v5, 0
	v_mad_u64_u32 v[3:4], null, s14, v5, 0
	v_lshlrev_b32_e32 v9, 2, v0
	s_ashr_i32 s13, s13, 31
	s_ashr_i32 s14, s14, 31
	s_delay_alu instid0(VALU_DEP_3) | instskip(NEXT) | instid1(VALU_DEP_3)
	v_mov_b32_e32 v0, v2
	v_mov_b32_e32 v2, v4
	s_delay_alu instid0(VALU_DEP_2) | instskip(NEXT) | instid1(VALU_DEP_2)
	v_mad_u64_u32 v[6:7], null, s13, v5, v[0:1]
	v_mad_u64_u32 v[7:8], null, s14, v5, v[2:3]
	v_lshl_add_u32 v5, s15, 5, v9
	s_mov_b32 s13, exec_lo
	s_delay_alu instid0(VALU_DEP_3) | instskip(NEXT) | instid1(VALU_DEP_3)
	v_mov_b32_e32 v2, v6
	v_mov_b32_e32 v4, v7
	s_delay_alu instid0(VALU_DEP_3)
	v_cmpx_gt_u32_e64 s12, v5
	s_cbranch_execz .LBB78_4
; %bb.2:
	v_mad_u64_u32 v[6:7], null, v5, s2, 0
	s_delay_alu instid0(VALU_DEP_1) | instskip(NEXT) | instid1(VALU_DEP_1)
	v_mov_b32_e32 v0, v7
	v_mad_u64_u32 v[7:8], null, v5, s3, v[0:1]
	s_delay_alu instid0(VALU_DEP_1) | instskip(NEXT) | instid1(VALU_DEP_1)
	v_lshlrev_b64 v[6:7], 2, v[6:7]
	v_add_co_u32 v6, vcc_lo, s0, v6
	s_delay_alu instid0(VALU_DEP_2)
	v_add_co_ci_u32_e32 v7, vcc_lo, s1, v7, vcc_lo
	global_load_b32 v0, v[6:7], off
	s_waitcnt vmcnt(0)
	v_cmp_neq_f32_e32 vcc_lo, 0, v0
	s_and_b32 exec_lo, exec_lo, vcc_lo
	s_cbranch_execz .LBB78_4
; %bb.3:
	v_mov_b32_e32 v6, 0
	v_lshlrev_b64 v[10:11], 2, v[3:4]
	v_lshlrev_b64 v[12:13], 2, v[1:2]
	s_lshl_b64 s[16:17], s[10:11], 2
	s_lshl_b64 s[14:15], s[6:7], 2
	v_lshlrev_b64 v[6:7], 3, v[5:6]
	s_delay_alu instid0(VALU_DEP_1) | instskip(NEXT) | instid1(VALU_DEP_2)
	v_add_co_u32 v8, vcc_lo, s8, v6
	v_add_co_ci_u32_e32 v9, vcc_lo, s9, v7, vcc_lo
	v_add_co_u32 v6, vcc_lo, s4, v6
	v_add_co_ci_u32_e32 v7, vcc_lo, s5, v7, vcc_lo
	global_load_b64 v[8:9], v[8:9], off
	global_load_b64 v[6:7], v[6:7], off
	s_waitcnt vmcnt(1)
	v_add_co_u32 v8, vcc_lo, v8, v10
	v_add_co_ci_u32_e32 v9, vcc_lo, v9, v11, vcc_lo
	s_waitcnt vmcnt(0)
	v_add_co_u32 v10, vcc_lo, v6, v12
	v_add_co_ci_u32_e32 v11, vcc_lo, v7, v13, vcc_lo
	v_add_co_u32 v6, vcc_lo, v8, s16
	v_add_co_ci_u32_e32 v7, vcc_lo, s17, v9, vcc_lo
	s_delay_alu instid0(VALU_DEP_4) | instskip(NEXT) | instid1(VALU_DEP_4)
	v_add_co_u32 v8, vcc_lo, v10, s14
	v_add_co_ci_u32_e32 v9, vcc_lo, s15, v11, vcc_lo
	global_load_b32 v10, v[6:7], off
	global_load_b32 v8, v[8:9], off
	s_waitcnt vmcnt(0)
	v_fmac_f32_e32 v10, v0, v8
	global_store_b32 v[6:7], v10, off
.LBB78_4:
	s_or_b32 exec_lo, exec_lo, s13
	v_or_b32_e32 v0, 1, v5
	s_mov_b32 s13, exec_lo
	s_delay_alu instid0(VALU_DEP_1)
	v_cmpx_gt_u32_e64 s12, v0
	s_cbranch_execz .LBB78_7
; %bb.5:
	v_mad_u64_u32 v[6:7], null, v0, s2, 0
	s_delay_alu instid0(VALU_DEP_1) | instskip(NEXT) | instid1(VALU_DEP_1)
	v_mad_u64_u32 v[8:9], null, v0, s3, v[7:8]
	v_mov_b32_e32 v7, v8
	s_delay_alu instid0(VALU_DEP_1) | instskip(NEXT) | instid1(VALU_DEP_1)
	v_lshlrev_b64 v[6:7], 2, v[6:7]
	v_add_co_u32 v6, vcc_lo, s0, v6
	s_delay_alu instid0(VALU_DEP_2)
	v_add_co_ci_u32_e32 v7, vcc_lo, s1, v7, vcc_lo
	global_load_b32 v0, v[6:7], off
	s_waitcnt vmcnt(0)
	v_cmp_neq_f32_e32 vcc_lo, 0, v0
	s_and_b32 exec_lo, exec_lo, vcc_lo
	s_cbranch_execz .LBB78_7
; %bb.6:
	v_mov_b32_e32 v6, 0
	v_lshlrev_b64 v[10:11], 2, v[3:4]
	v_lshlrev_b64 v[12:13], 2, v[1:2]
	s_lshl_b64 s[16:17], s[10:11], 2
	s_lshl_b64 s[14:15], s[6:7], 2
	v_lshlrev_b64 v[6:7], 3, v[5:6]
	s_delay_alu instid0(VALU_DEP_1) | instskip(NEXT) | instid1(VALU_DEP_2)
	v_add_co_u32 v8, vcc_lo, s8, v6
	v_add_co_ci_u32_e32 v9, vcc_lo, s9, v7, vcc_lo
	v_add_co_u32 v6, vcc_lo, s4, v6
	v_add_co_ci_u32_e32 v7, vcc_lo, s5, v7, vcc_lo
	global_load_b64 v[8:9], v[8:9], off offset:8
	global_load_b64 v[6:7], v[6:7], off offset:8
	s_waitcnt vmcnt(1)
	v_add_co_u32 v8, vcc_lo, v8, v10
	v_add_co_ci_u32_e32 v9, vcc_lo, v9, v11, vcc_lo
	s_waitcnt vmcnt(0)
	v_add_co_u32 v10, vcc_lo, v6, v12
	v_add_co_ci_u32_e32 v11, vcc_lo, v7, v13, vcc_lo
	v_add_co_u32 v6, vcc_lo, v8, s16
	v_add_co_ci_u32_e32 v7, vcc_lo, s17, v9, vcc_lo
	s_delay_alu instid0(VALU_DEP_4) | instskip(NEXT) | instid1(VALU_DEP_4)
	v_add_co_u32 v8, vcc_lo, v10, s14
	v_add_co_ci_u32_e32 v9, vcc_lo, s15, v11, vcc_lo
	global_load_b32 v10, v[6:7], off
	global_load_b32 v8, v[8:9], off
	s_waitcnt vmcnt(0)
	v_fmac_f32_e32 v10, v0, v8
	global_store_b32 v[6:7], v10, off
.LBB78_7:
	s_or_b32 exec_lo, exec_lo, s13
	v_or_b32_e32 v0, 2, v5
	s_mov_b32 s13, exec_lo
	s_delay_alu instid0(VALU_DEP_1)
	v_cmpx_gt_u32_e64 s12, v0
	s_cbranch_execz .LBB78_10
; %bb.8:
	v_mad_u64_u32 v[6:7], null, v0, s2, 0
	s_delay_alu instid0(VALU_DEP_1) | instskip(NEXT) | instid1(VALU_DEP_1)
	v_mad_u64_u32 v[8:9], null, v0, s3, v[7:8]
	v_mov_b32_e32 v7, v8
	s_delay_alu instid0(VALU_DEP_1) | instskip(NEXT) | instid1(VALU_DEP_1)
	v_lshlrev_b64 v[6:7], 2, v[6:7]
	v_add_co_u32 v6, vcc_lo, s0, v6
	s_delay_alu instid0(VALU_DEP_2)
	v_add_co_ci_u32_e32 v7, vcc_lo, s1, v7, vcc_lo
	global_load_b32 v0, v[6:7], off
	s_waitcnt vmcnt(0)
	v_cmp_neq_f32_e32 vcc_lo, 0, v0
	s_and_b32 exec_lo, exec_lo, vcc_lo
	s_cbranch_execz .LBB78_10
; %bb.9:
	v_mov_b32_e32 v6, 0
	v_lshlrev_b64 v[10:11], 2, v[3:4]
	v_lshlrev_b64 v[12:13], 2, v[1:2]
	s_lshl_b64 s[16:17], s[10:11], 2
	s_lshl_b64 s[14:15], s[6:7], 2
	v_lshlrev_b64 v[6:7], 3, v[5:6]
	s_delay_alu instid0(VALU_DEP_1) | instskip(NEXT) | instid1(VALU_DEP_2)
	v_add_co_u32 v8, vcc_lo, s8, v6
	v_add_co_ci_u32_e32 v9, vcc_lo, s9, v7, vcc_lo
	v_add_co_u32 v6, vcc_lo, s4, v6
	v_add_co_ci_u32_e32 v7, vcc_lo, s5, v7, vcc_lo
	global_load_b64 v[8:9], v[8:9], off offset:16
	global_load_b64 v[6:7], v[6:7], off offset:16
	s_waitcnt vmcnt(1)
	v_add_co_u32 v8, vcc_lo, v8, v10
	v_add_co_ci_u32_e32 v9, vcc_lo, v9, v11, vcc_lo
	s_waitcnt vmcnt(0)
	v_add_co_u32 v10, vcc_lo, v6, v12
	v_add_co_ci_u32_e32 v11, vcc_lo, v7, v13, vcc_lo
	v_add_co_u32 v6, vcc_lo, v8, s16
	v_add_co_ci_u32_e32 v7, vcc_lo, s17, v9, vcc_lo
	s_delay_alu instid0(VALU_DEP_4) | instskip(NEXT) | instid1(VALU_DEP_4)
	v_add_co_u32 v8, vcc_lo, v10, s14
	v_add_co_ci_u32_e32 v9, vcc_lo, s15, v11, vcc_lo
	global_load_b32 v10, v[6:7], off
	global_load_b32 v8, v[8:9], off
	s_waitcnt vmcnt(0)
	v_fmac_f32_e32 v10, v0, v8
	global_store_b32 v[6:7], v10, off
.LBB78_10:
	s_or_b32 exec_lo, exec_lo, s13
	v_or_b32_e32 v0, 3, v5
	s_delay_alu instid0(VALU_DEP_1)
	v_cmp_gt_u32_e32 vcc_lo, s12, v0
	s_and_b32 exec_lo, exec_lo, vcc_lo
	s_cbranch_execz .LBB78_13
; %bb.11:
	v_mad_u64_u32 v[6:7], null, v0, s2, 0
	s_delay_alu instid0(VALU_DEP_1) | instskip(NEXT) | instid1(VALU_DEP_1)
	v_mad_u64_u32 v[8:9], null, v0, s3, v[7:8]
	v_mov_b32_e32 v7, v8
	s_delay_alu instid0(VALU_DEP_1) | instskip(NEXT) | instid1(VALU_DEP_1)
	v_lshlrev_b64 v[6:7], 2, v[6:7]
	v_add_co_u32 v6, vcc_lo, s0, v6
	s_delay_alu instid0(VALU_DEP_2)
	v_add_co_ci_u32_e32 v7, vcc_lo, s1, v7, vcc_lo
	global_load_b32 v0, v[6:7], off
	s_waitcnt vmcnt(0)
	v_cmp_neq_f32_e32 vcc_lo, 0, v0
	s_and_b32 exec_lo, exec_lo, vcc_lo
	s_cbranch_execz .LBB78_13
; %bb.12:
	v_mov_b32_e32 v6, 0
	v_lshlrev_b64 v[3:4], 2, v[3:4]
	v_lshlrev_b64 v[1:2], 2, v[1:2]
	s_lshl_b64 s[2:3], s[10:11], 2
	s_lshl_b64 s[0:1], s[6:7], 2
	v_lshlrev_b64 v[5:6], 3, v[5:6]
	s_delay_alu instid0(VALU_DEP_1) | instskip(NEXT) | instid1(VALU_DEP_2)
	v_add_co_u32 v7, vcc_lo, s8, v5
	v_add_co_ci_u32_e32 v8, vcc_lo, s9, v6, vcc_lo
	v_add_co_u32 v5, vcc_lo, s4, v5
	v_add_co_ci_u32_e32 v6, vcc_lo, s5, v6, vcc_lo
	global_load_b64 v[7:8], v[7:8], off offset:24
	global_load_b64 v[5:6], v[5:6], off offset:24
	s_waitcnt vmcnt(1)
	v_add_co_u32 v3, vcc_lo, v7, v3
	v_add_co_ci_u32_e32 v4, vcc_lo, v8, v4, vcc_lo
	s_waitcnt vmcnt(0)
	v_add_co_u32 v5, vcc_lo, v5, v1
	v_add_co_ci_u32_e32 v6, vcc_lo, v6, v2, vcc_lo
	v_add_co_u32 v1, vcc_lo, v3, s2
	v_add_co_ci_u32_e32 v2, vcc_lo, s3, v4, vcc_lo
	s_delay_alu instid0(VALU_DEP_4) | instskip(NEXT) | instid1(VALU_DEP_4)
	v_add_co_u32 v3, vcc_lo, v5, s0
	v_add_co_ci_u32_e32 v4, vcc_lo, s1, v6, vcc_lo
	global_load_b32 v5, v[1:2], off
	global_load_b32 v3, v[3:4], off
	s_waitcnt vmcnt(0)
	v_fmac_f32_e32 v5, v0, v3
	global_store_b32 v[1:2], v5, off
.LBB78_13:
	s_nop 0
	s_sendmsg sendmsg(MSG_DEALLOC_VGPRS)
	s_endpgm
	.section	.rodata,"a",@progbits
	.p2align	6, 0x0
	.amdhsa_kernel _ZL27rocblas_axpy_kernel_batchedIiLi128ELi8EfPKfPKS1_PKPfEviT3_lT4_lT_lT5_lS9_li
		.amdhsa_group_segment_fixed_size 0
		.amdhsa_private_segment_fixed_size 0
		.amdhsa_kernarg_size 92
		.amdhsa_user_sgpr_count 14
		.amdhsa_user_sgpr_dispatch_ptr 0
		.amdhsa_user_sgpr_queue_ptr 0
		.amdhsa_user_sgpr_kernarg_segment_ptr 1
		.amdhsa_user_sgpr_dispatch_id 0
		.amdhsa_user_sgpr_private_segment_size 0
		.amdhsa_wavefront_size32 1
		.amdhsa_uses_dynamic_stack 0
		.amdhsa_enable_private_segment 0
		.amdhsa_system_sgpr_workgroup_id_x 1
		.amdhsa_system_sgpr_workgroup_id_y 0
		.amdhsa_system_sgpr_workgroup_id_z 1
		.amdhsa_system_sgpr_workgroup_info 0
		.amdhsa_system_vgpr_workitem_id 1
		.amdhsa_next_free_vgpr 14
		.amdhsa_next_free_sgpr 18
		.amdhsa_reserve_vcc 1
		.amdhsa_float_round_mode_32 0
		.amdhsa_float_round_mode_16_64 0
		.amdhsa_float_denorm_mode_32 3
		.amdhsa_float_denorm_mode_16_64 3
		.amdhsa_dx10_clamp 1
		.amdhsa_ieee_mode 1
		.amdhsa_fp16_overflow 0
		.amdhsa_workgroup_processor_mode 1
		.amdhsa_memory_ordered 1
		.amdhsa_forward_progress 0
		.amdhsa_shared_vgpr_count 0
		.amdhsa_exception_fp_ieee_invalid_op 0
		.amdhsa_exception_fp_denorm_src 0
		.amdhsa_exception_fp_ieee_div_zero 0
		.amdhsa_exception_fp_ieee_overflow 0
		.amdhsa_exception_fp_ieee_underflow 0
		.amdhsa_exception_fp_ieee_inexact 0
		.amdhsa_exception_int_div_zero 0
	.end_amdhsa_kernel
	.section	.text._ZL27rocblas_axpy_kernel_batchedIiLi128ELi8EfPKfPKS1_PKPfEviT3_lT4_lT_lT5_lS9_li,"axG",@progbits,_ZL27rocblas_axpy_kernel_batchedIiLi128ELi8EfPKfPKS1_PKPfEviT3_lT4_lT_lT5_lS9_li,comdat
.Lfunc_end78:
	.size	_ZL27rocblas_axpy_kernel_batchedIiLi128ELi8EfPKfPKS1_PKPfEviT3_lT4_lT_lT5_lS9_li, .Lfunc_end78-_ZL27rocblas_axpy_kernel_batchedIiLi128ELi8EfPKfPKS1_PKPfEviT3_lT4_lT_lT5_lS9_li
                                        ; -- End function
	.section	.AMDGPU.csdata,"",@progbits
; Kernel info:
; codeLenInByte = 1296
; NumSgprs: 20
; NumVgprs: 14
; ScratchSize: 0
; MemoryBound: 0
; FloatMode: 240
; IeeeMode: 1
; LDSByteSize: 0 bytes/workgroup (compile time only)
; SGPRBlocks: 2
; VGPRBlocks: 1
; NumSGPRsForWavesPerEU: 20
; NumVGPRsForWavesPerEU: 14
; Occupancy: 16
; WaveLimiterHint : 1
; COMPUTE_PGM_RSRC2:SCRATCH_EN: 0
; COMPUTE_PGM_RSRC2:USER_SGPR: 14
; COMPUTE_PGM_RSRC2:TRAP_HANDLER: 0
; COMPUTE_PGM_RSRC2:TGID_X_EN: 1
; COMPUTE_PGM_RSRC2:TGID_Y_EN: 0
; COMPUTE_PGM_RSRC2:TGID_Z_EN: 1
; COMPUTE_PGM_RSRC2:TIDIG_COMP_CNT: 1
	.section	.text._ZL27rocblas_axpy_kernel_batchedIiLi128ELi8EffPKPKfPKPfEviT3_lT4_lT_lT5_lS9_li,"axG",@progbits,_ZL27rocblas_axpy_kernel_batchedIiLi128ELi8EffPKPKfPKPfEviT3_lT4_lT_lT5_lS9_li,comdat
	.globl	_ZL27rocblas_axpy_kernel_batchedIiLi128ELi8EffPKPKfPKPfEviT3_lT4_lT_lT5_lS9_li ; -- Begin function _ZL27rocblas_axpy_kernel_batchedIiLi128ELi8EffPKPKfPKPfEviT3_lT4_lT_lT5_lS9_li
	.p2align	8
	.type	_ZL27rocblas_axpy_kernel_batchedIiLi128ELi8EffPKPKfPKPfEviT3_lT4_lT_lT5_lS9_li,@function
_ZL27rocblas_axpy_kernel_batchedIiLi128ELi8EffPKPKfPKPfEviT3_lT4_lT_lT5_lS9_li: ; @_ZL27rocblas_axpy_kernel_batchedIiLi128ELi8EffPKPKfPKPfEviT3_lT4_lT_lT5_lS9_li
; %bb.0:
	s_load_b64 s[8:9], s[0:1], 0x0
	v_dual_mov_b32 v2, 0 :: v_dual_and_b32 v1, 0x3ff, v0
	s_delay_alu instid0(VALU_DEP_1)
	v_lshl_add_u32 v1, s14, 7, v1
	s_waitcnt lgkmcnt(0)
	s_ashr_i32 s3, s8, 31
	s_mov_b32 s2, s8
	s_delay_alu instid0(VALU_DEP_1) | instid1(SALU_CYCLE_1)
	v_cmp_gt_i64_e32 vcc_lo, s[2:3], v[1:2]
	s_and_saveexec_b32 s2, vcc_lo
	s_cbranch_execz .LBB79_9
; %bb.1:
	s_clause 0x2
	s_load_b32 s10, s[0:1], 0x20
	s_load_b32 s11, s[0:1], 0x40
	s_load_b32 s8, s[0:1], 0x50
	v_bfe_u32 v4, v0, 10, 10
	s_clause 0x1
	s_load_b128 s[4:7], s[0:1], 0x10
	s_load_b128 s[0:3], s[0:1], 0x30
	s_waitcnt lgkmcnt(0)
	v_mad_u64_u32 v[2:3], null, s10, v1, 0
	v_mad_u64_u32 v[5:6], null, s11, v1, 0
	s_ashr_i32 s10, s10, 31
	s_ashr_i32 s11, s11, 31
	s_delay_alu instid0(VALU_DEP_1) | instskip(NEXT) | instid1(VALU_DEP_1)
	v_dual_mov_b32 v0, v3 :: v_dual_mov_b32 v3, v6
	v_mad_u64_u32 v[6:7], null, s10, v1, v[0:1]
	s_delay_alu instid0(VALU_DEP_2) | instskip(SKIP_2) | instid1(VALU_DEP_4)
	v_mad_u64_u32 v[7:8], null, s11, v1, v[3:4]
	v_lshlrev_b32_e32 v0, 2, v4
	v_cmp_neq_f32_e64 s10, s9, 0
	v_mov_b32_e32 v3, v6
	s_delay_alu instid0(VALU_DEP_3) | instskip(SKIP_1) | instid1(VALU_DEP_3)
	v_lshl_add_u32 v4, s15, 5, v0
	v_mov_b32_e32 v6, v7
	v_lshlrev_b64 v[0:1], 2, v[2:3]
	s_delay_alu instid0(VALU_DEP_3) | instskip(NEXT) | instid1(VALU_DEP_3)
	v_cmp_gt_u32_e32 vcc_lo, s8, v4
	v_lshlrev_b64 v[2:3], 2, v[5:6]
	s_and_b32 s12, s10, vcc_lo
	s_delay_alu instid0(SALU_CYCLE_1)
	s_and_saveexec_b32 s11, s12
	s_cbranch_execz .LBB79_3
; %bb.2:
	v_mov_b32_e32 v5, 0
	s_lshl_b64 s[14:15], s[2:3], 2
	s_lshl_b64 s[12:13], s[6:7], 2
	s_delay_alu instid0(VALU_DEP_1) | instskip(NEXT) | instid1(VALU_DEP_1)
	v_lshlrev_b64 v[5:6], 3, v[4:5]
	v_add_co_u32 v7, vcc_lo, s0, v5
	s_delay_alu instid0(VALU_DEP_2)
	v_add_co_ci_u32_e32 v8, vcc_lo, s1, v6, vcc_lo
	v_add_co_u32 v5, vcc_lo, s4, v5
	v_add_co_ci_u32_e32 v6, vcc_lo, s5, v6, vcc_lo
	global_load_b64 v[7:8], v[7:8], off
	global_load_b64 v[5:6], v[5:6], off
	s_waitcnt vmcnt(1)
	v_add_co_u32 v7, vcc_lo, v7, v2
	v_add_co_ci_u32_e32 v8, vcc_lo, v8, v3, vcc_lo
	s_waitcnt vmcnt(0)
	v_add_co_u32 v9, vcc_lo, v5, v0
	v_add_co_ci_u32_e32 v10, vcc_lo, v6, v1, vcc_lo
	v_add_co_u32 v5, vcc_lo, v7, s14
	v_add_co_ci_u32_e32 v6, vcc_lo, s15, v8, vcc_lo
	s_delay_alu instid0(VALU_DEP_4) | instskip(NEXT) | instid1(VALU_DEP_4)
	v_add_co_u32 v7, vcc_lo, v9, s12
	v_add_co_ci_u32_e32 v8, vcc_lo, s13, v10, vcc_lo
	global_load_b32 v9, v[5:6], off
	global_load_b32 v7, v[7:8], off
	s_waitcnt vmcnt(0)
	v_fmac_f32_e32 v9, s9, v7
	global_store_b32 v[5:6], v9, off
.LBB79_3:
	s_or_b32 exec_lo, exec_lo, s11
	v_or_b32_e32 v5, 1, v4
	s_delay_alu instid0(VALU_DEP_1) | instskip(SKIP_1) | instid1(SALU_CYCLE_1)
	v_cmp_gt_u32_e32 vcc_lo, s8, v5
	s_and_b32 s12, s10, vcc_lo
	s_and_saveexec_b32 s11, s12
	s_cbranch_execz .LBB79_5
; %bb.4:
	v_mov_b32_e32 v5, 0
	s_lshl_b64 s[14:15], s[2:3], 2
	s_lshl_b64 s[12:13], s[6:7], 2
	s_delay_alu instid0(VALU_DEP_1) | instskip(NEXT) | instid1(VALU_DEP_1)
	v_lshlrev_b64 v[5:6], 3, v[4:5]
	v_add_co_u32 v7, vcc_lo, s0, v5
	s_delay_alu instid0(VALU_DEP_2)
	v_add_co_ci_u32_e32 v8, vcc_lo, s1, v6, vcc_lo
	v_add_co_u32 v5, vcc_lo, s4, v5
	v_add_co_ci_u32_e32 v6, vcc_lo, s5, v6, vcc_lo
	global_load_b64 v[7:8], v[7:8], off offset:8
	global_load_b64 v[5:6], v[5:6], off offset:8
	s_waitcnt vmcnt(1)
	v_add_co_u32 v7, vcc_lo, v7, v2
	v_add_co_ci_u32_e32 v8, vcc_lo, v8, v3, vcc_lo
	s_waitcnt vmcnt(0)
	v_add_co_u32 v9, vcc_lo, v5, v0
	v_add_co_ci_u32_e32 v10, vcc_lo, v6, v1, vcc_lo
	v_add_co_u32 v5, vcc_lo, v7, s14
	v_add_co_ci_u32_e32 v6, vcc_lo, s15, v8, vcc_lo
	s_delay_alu instid0(VALU_DEP_4) | instskip(NEXT) | instid1(VALU_DEP_4)
	v_add_co_u32 v7, vcc_lo, v9, s12
	v_add_co_ci_u32_e32 v8, vcc_lo, s13, v10, vcc_lo
	global_load_b32 v9, v[5:6], off
	global_load_b32 v7, v[7:8], off
	s_waitcnt vmcnt(0)
	v_fmac_f32_e32 v9, s9, v7
	global_store_b32 v[5:6], v9, off
.LBB79_5:
	s_or_b32 exec_lo, exec_lo, s11
	v_or_b32_e32 v5, 2, v4
	s_delay_alu instid0(VALU_DEP_1) | instskip(SKIP_1) | instid1(SALU_CYCLE_1)
	v_cmp_gt_u32_e32 vcc_lo, s8, v5
	s_and_b32 s12, s10, vcc_lo
	s_and_saveexec_b32 s11, s12
	s_cbranch_execz .LBB79_7
; %bb.6:
	v_mov_b32_e32 v5, 0
	s_lshl_b64 s[14:15], s[2:3], 2
	s_lshl_b64 s[12:13], s[6:7], 2
	s_delay_alu instid0(VALU_DEP_1) | instskip(NEXT) | instid1(VALU_DEP_1)
	v_lshlrev_b64 v[5:6], 3, v[4:5]
	v_add_co_u32 v7, vcc_lo, s0, v5
	s_delay_alu instid0(VALU_DEP_2)
	v_add_co_ci_u32_e32 v8, vcc_lo, s1, v6, vcc_lo
	v_add_co_u32 v5, vcc_lo, s4, v5
	v_add_co_ci_u32_e32 v6, vcc_lo, s5, v6, vcc_lo
	global_load_b64 v[7:8], v[7:8], off offset:16
	global_load_b64 v[5:6], v[5:6], off offset:16
	s_waitcnt vmcnt(1)
	v_add_co_u32 v7, vcc_lo, v7, v2
	v_add_co_ci_u32_e32 v8, vcc_lo, v8, v3, vcc_lo
	s_waitcnt vmcnt(0)
	v_add_co_u32 v9, vcc_lo, v5, v0
	v_add_co_ci_u32_e32 v10, vcc_lo, v6, v1, vcc_lo
	v_add_co_u32 v5, vcc_lo, v7, s14
	v_add_co_ci_u32_e32 v6, vcc_lo, s15, v8, vcc_lo
	s_delay_alu instid0(VALU_DEP_4) | instskip(NEXT) | instid1(VALU_DEP_4)
	v_add_co_u32 v7, vcc_lo, v9, s12
	v_add_co_ci_u32_e32 v8, vcc_lo, s13, v10, vcc_lo
	global_load_b32 v9, v[5:6], off
	global_load_b32 v7, v[7:8], off
	s_waitcnt vmcnt(0)
	v_fmac_f32_e32 v9, s9, v7
	global_store_b32 v[5:6], v9, off
.LBB79_7:
	s_or_b32 exec_lo, exec_lo, s11
	v_or_b32_e32 v5, 3, v4
	s_delay_alu instid0(VALU_DEP_1) | instskip(SKIP_1) | instid1(SALU_CYCLE_1)
	v_cmp_gt_u32_e32 vcc_lo, s8, v5
	s_and_b32 s8, s10, vcc_lo
	s_and_b32 exec_lo, exec_lo, s8
	s_cbranch_execz .LBB79_9
; %bb.8:
	v_mov_b32_e32 v5, 0
	s_lshl_b64 s[2:3], s[2:3], 2
	s_delay_alu instid0(VALU_DEP_1) | instskip(NEXT) | instid1(VALU_DEP_1)
	v_lshlrev_b64 v[4:5], 3, v[4:5]
	v_add_co_u32 v6, vcc_lo, s0, v4
	s_delay_alu instid0(VALU_DEP_2)
	v_add_co_ci_u32_e32 v7, vcc_lo, s1, v5, vcc_lo
	v_add_co_u32 v4, vcc_lo, s4, v4
	v_add_co_ci_u32_e32 v5, vcc_lo, s5, v5, vcc_lo
	s_lshl_b64 s[0:1], s[6:7], 2
	global_load_b64 v[6:7], v[6:7], off offset:24
	global_load_b64 v[4:5], v[4:5], off offset:24
	s_waitcnt vmcnt(1)
	v_add_co_u32 v2, vcc_lo, v6, v2
	v_add_co_ci_u32_e32 v3, vcc_lo, v7, v3, vcc_lo
	s_waitcnt vmcnt(0)
	v_add_co_u32 v4, vcc_lo, v4, v0
	v_add_co_ci_u32_e32 v5, vcc_lo, v5, v1, vcc_lo
	v_add_co_u32 v0, vcc_lo, v2, s2
	v_add_co_ci_u32_e32 v1, vcc_lo, s3, v3, vcc_lo
	s_delay_alu instid0(VALU_DEP_4) | instskip(NEXT) | instid1(VALU_DEP_4)
	v_add_co_u32 v2, vcc_lo, v4, s0
	v_add_co_ci_u32_e32 v3, vcc_lo, s1, v5, vcc_lo
	global_load_b32 v4, v[0:1], off
	global_load_b32 v2, v[2:3], off
	s_waitcnt vmcnt(0)
	v_fmac_f32_e32 v4, s9, v2
	global_store_b32 v[0:1], v4, off
.LBB79_9:
	s_nop 0
	s_sendmsg sendmsg(MSG_DEALLOC_VGPRS)
	s_endpgm
	.section	.rodata,"a",@progbits
	.p2align	6, 0x0
	.amdhsa_kernel _ZL27rocblas_axpy_kernel_batchedIiLi128ELi8EffPKPKfPKPfEviT3_lT4_lT_lT5_lS9_li
		.amdhsa_group_segment_fixed_size 0
		.amdhsa_private_segment_fixed_size 0
		.amdhsa_kernarg_size 84
		.amdhsa_user_sgpr_count 14
		.amdhsa_user_sgpr_dispatch_ptr 0
		.amdhsa_user_sgpr_queue_ptr 0
		.amdhsa_user_sgpr_kernarg_segment_ptr 1
		.amdhsa_user_sgpr_dispatch_id 0
		.amdhsa_user_sgpr_private_segment_size 0
		.amdhsa_wavefront_size32 1
		.amdhsa_uses_dynamic_stack 0
		.amdhsa_enable_private_segment 0
		.amdhsa_system_sgpr_workgroup_id_x 1
		.amdhsa_system_sgpr_workgroup_id_y 0
		.amdhsa_system_sgpr_workgroup_id_z 1
		.amdhsa_system_sgpr_workgroup_info 0
		.amdhsa_system_vgpr_workitem_id 1
		.amdhsa_next_free_vgpr 11
		.amdhsa_next_free_sgpr 16
		.amdhsa_reserve_vcc 1
		.amdhsa_float_round_mode_32 0
		.amdhsa_float_round_mode_16_64 0
		.amdhsa_float_denorm_mode_32 3
		.amdhsa_float_denorm_mode_16_64 3
		.amdhsa_dx10_clamp 1
		.amdhsa_ieee_mode 1
		.amdhsa_fp16_overflow 0
		.amdhsa_workgroup_processor_mode 1
		.amdhsa_memory_ordered 1
		.amdhsa_forward_progress 0
		.amdhsa_shared_vgpr_count 0
		.amdhsa_exception_fp_ieee_invalid_op 0
		.amdhsa_exception_fp_denorm_src 0
		.amdhsa_exception_fp_ieee_div_zero 0
		.amdhsa_exception_fp_ieee_overflow 0
		.amdhsa_exception_fp_ieee_underflow 0
		.amdhsa_exception_fp_ieee_inexact 0
		.amdhsa_exception_int_div_zero 0
	.end_amdhsa_kernel
	.section	.text._ZL27rocblas_axpy_kernel_batchedIiLi128ELi8EffPKPKfPKPfEviT3_lT4_lT_lT5_lS9_li,"axG",@progbits,_ZL27rocblas_axpy_kernel_batchedIiLi128ELi8EffPKPKfPKPfEviT3_lT4_lT_lT5_lS9_li,comdat
.Lfunc_end79:
	.size	_ZL27rocblas_axpy_kernel_batchedIiLi128ELi8EffPKPKfPKPfEviT3_lT4_lT_lT5_lS9_li, .Lfunc_end79-_ZL27rocblas_axpy_kernel_batchedIiLi128ELi8EffPKPKfPKPfEviT3_lT4_lT_lT5_lS9_li
                                        ; -- End function
	.section	.AMDGPU.csdata,"",@progbits
; Kernel info:
; codeLenInByte = 984
; NumSgprs: 18
; NumVgprs: 11
; ScratchSize: 0
; MemoryBound: 0
; FloatMode: 240
; IeeeMode: 1
; LDSByteSize: 0 bytes/workgroup (compile time only)
; SGPRBlocks: 2
; VGPRBlocks: 1
; NumSGPRsForWavesPerEU: 18
; NumVGPRsForWavesPerEU: 11
; Occupancy: 16
; WaveLimiterHint : 1
; COMPUTE_PGM_RSRC2:SCRATCH_EN: 0
; COMPUTE_PGM_RSRC2:USER_SGPR: 14
; COMPUTE_PGM_RSRC2:TRAP_HANDLER: 0
; COMPUTE_PGM_RSRC2:TGID_X_EN: 1
; COMPUTE_PGM_RSRC2:TGID_Y_EN: 0
; COMPUTE_PGM_RSRC2:TGID_Z_EN: 1
; COMPUTE_PGM_RSRC2:TIDIG_COMP_CNT: 1
	.section	.text._ZL19rocblas_axpy_kernelIiLi256EfPKfPKS1_PKPfEviT2_lT3_lT_lT4_lS9_li,"axG",@progbits,_ZL19rocblas_axpy_kernelIiLi256EfPKfPKS1_PKPfEviT2_lT3_lT_lT4_lS9_li,comdat
	.globl	_ZL19rocblas_axpy_kernelIiLi256EfPKfPKS1_PKPfEviT2_lT3_lT_lT4_lS9_li ; -- Begin function _ZL19rocblas_axpy_kernelIiLi256EfPKfPKS1_PKPfEviT2_lT3_lT_lT4_lS9_li
	.p2align	8
	.type	_ZL19rocblas_axpy_kernelIiLi256EfPKfPKS1_PKPfEviT2_lT3_lT_lT4_lS9_li,@function
_ZL19rocblas_axpy_kernelIiLi256EfPKfPKS1_PKPfEviT2_lT3_lT_lT4_lS9_li: ; @_ZL19rocblas_axpy_kernelIiLi256EfPKfPKS1_PKPfEviT2_lT3_lT_lT4_lS9_li
; %bb.0:
	s_clause 0x1
	s_load_b128 s[4:7], s[0:1], 0x8
	s_load_b32 s8, s[0:1], 0x0
	v_lshl_or_b32 v0, s14, 8, v0
	v_mov_b32_e32 v1, 0
	s_waitcnt lgkmcnt(0)
	s_mul_i32 s3, s15, s7
	s_mul_hi_u32 s7, s15, s6
	s_mul_i32 s6, s15, s6
	s_add_i32 s7, s7, s3
	s_ashr_i32 s9, s8, 31
	s_lshl_b64 s[6:7], s[6:7], 2
	v_cmp_gt_i64_e32 vcc_lo, s[8:9], v[0:1]
	s_add_u32 s4, s4, s6
	s_addc_u32 s5, s5, s7
	s_mov_b32 s3, 0
	s_load_b32 s4, s[4:5], 0x0
	s_waitcnt lgkmcnt(0)
	v_cmp_neq_f32_e64 s5, s4, 0
	s_delay_alu instid0(VALU_DEP_1) | instskip(NEXT) | instid1(SALU_CYCLE_1)
	s_and_b32 s5, vcc_lo, s5
	s_and_saveexec_b32 s6, s5
	s_cbranch_execz .LBB80_2
; %bb.1:
	s_clause 0x2
	s_load_b32 s5, s[0:1], 0x28
	s_load_b32 s12, s[0:1], 0x48
	s_load_b128 s[8:11], s[0:1], 0x18
	s_mov_b32 s2, s15
	s_delay_alu instid0(SALU_CYCLE_1)
	s_lshl_b64 s[6:7], s[2:3], 3
	s_waitcnt lgkmcnt(0)
	s_ashr_i32 s13, s5, 31
	s_ashr_i32 s14, s12, 31
	s_add_u32 s2, s8, s6
	s_addc_u32 s3, s9, s7
	v_mad_u64_u32 v[1:2], null, s12, v0, 0
	s_load_b64 s[8:9], s[2:3], 0x0
	s_load_b128 s[0:3], s[0:1], 0x38
	v_mad_u64_u32 v[3:4], null, s5, v0, 0
	s_lshl_b64 s[10:11], s[10:11], 2
	s_delay_alu instid0(VALU_DEP_1) | instskip(NEXT) | instid1(VALU_DEP_1)
	v_mad_u64_u32 v[5:6], null, s14, v0, v[2:3]
	v_mad_u64_u32 v[6:7], null, s13, v0, v[4:5]
	s_waitcnt lgkmcnt(0)
	s_add_u32 s5, s10, s8
	s_addc_u32 s8, s11, s9
	s_add_u32 s0, s0, s6
	s_addc_u32 s1, s1, s7
	v_mov_b32_e32 v2, v5
	s_load_b64 s[0:1], s[0:1], 0x0
	v_mov_b32_e32 v4, v6
	s_lshl_b64 s[2:3], s[2:3], 2
	s_delay_alu instid0(VALU_DEP_2) | instskip(NEXT) | instid1(VALU_DEP_2)
	v_lshlrev_b64 v[0:1], 2, v[1:2]
	v_lshlrev_b64 v[2:3], 2, v[3:4]
	s_waitcnt lgkmcnt(0)
	s_add_u32 s0, s2, s0
	s_addc_u32 s1, s3, s1
	s_delay_alu instid0(VALU_DEP_2)
	v_add_co_u32 v0, vcc_lo, s0, v0
	v_add_co_ci_u32_e32 v1, vcc_lo, s1, v1, vcc_lo
	v_add_co_u32 v2, vcc_lo, s5, v2
	v_add_co_ci_u32_e32 v3, vcc_lo, s8, v3, vcc_lo
	global_load_b32 v4, v[0:1], off
	global_load_b32 v2, v[2:3], off
	s_waitcnt vmcnt(0)
	v_fmac_f32_e32 v4, s4, v2
	global_store_b32 v[0:1], v4, off
.LBB80_2:
	s_nop 0
	s_sendmsg sendmsg(MSG_DEALLOC_VGPRS)
	s_endpgm
	.section	.rodata,"a",@progbits
	.p2align	6, 0x0
	.amdhsa_kernel _ZL19rocblas_axpy_kernelIiLi256EfPKfPKS1_PKPfEviT2_lT3_lT_lT4_lS9_li
		.amdhsa_group_segment_fixed_size 0
		.amdhsa_private_segment_fixed_size 0
		.amdhsa_kernarg_size 92
		.amdhsa_user_sgpr_count 14
		.amdhsa_user_sgpr_dispatch_ptr 0
		.amdhsa_user_sgpr_queue_ptr 0
		.amdhsa_user_sgpr_kernarg_segment_ptr 1
		.amdhsa_user_sgpr_dispatch_id 0
		.amdhsa_user_sgpr_private_segment_size 0
		.amdhsa_wavefront_size32 1
		.amdhsa_uses_dynamic_stack 0
		.amdhsa_enable_private_segment 0
		.amdhsa_system_sgpr_workgroup_id_x 1
		.amdhsa_system_sgpr_workgroup_id_y 0
		.amdhsa_system_sgpr_workgroup_id_z 1
		.amdhsa_system_sgpr_workgroup_info 0
		.amdhsa_system_vgpr_workitem_id 0
		.amdhsa_next_free_vgpr 8
		.amdhsa_next_free_sgpr 16
		.amdhsa_reserve_vcc 1
		.amdhsa_float_round_mode_32 0
		.amdhsa_float_round_mode_16_64 0
		.amdhsa_float_denorm_mode_32 3
		.amdhsa_float_denorm_mode_16_64 3
		.amdhsa_dx10_clamp 1
		.amdhsa_ieee_mode 1
		.amdhsa_fp16_overflow 0
		.amdhsa_workgroup_processor_mode 1
		.amdhsa_memory_ordered 1
		.amdhsa_forward_progress 0
		.amdhsa_shared_vgpr_count 0
		.amdhsa_exception_fp_ieee_invalid_op 0
		.amdhsa_exception_fp_denorm_src 0
		.amdhsa_exception_fp_ieee_div_zero 0
		.amdhsa_exception_fp_ieee_overflow 0
		.amdhsa_exception_fp_ieee_underflow 0
		.amdhsa_exception_fp_ieee_inexact 0
		.amdhsa_exception_int_div_zero 0
	.end_amdhsa_kernel
	.section	.text._ZL19rocblas_axpy_kernelIiLi256EfPKfPKS1_PKPfEviT2_lT3_lT_lT4_lS9_li,"axG",@progbits,_ZL19rocblas_axpy_kernelIiLi256EfPKfPKS1_PKPfEviT2_lT3_lT_lT4_lS9_li,comdat
.Lfunc_end80:
	.size	_ZL19rocblas_axpy_kernelIiLi256EfPKfPKS1_PKPfEviT2_lT3_lT_lT4_lS9_li, .Lfunc_end80-_ZL19rocblas_axpy_kernelIiLi256EfPKfPKS1_PKPfEviT2_lT3_lT_lT4_lS9_li
                                        ; -- End function
	.section	.AMDGPU.csdata,"",@progbits
; Kernel info:
; codeLenInByte = 372
; NumSgprs: 18
; NumVgprs: 8
; ScratchSize: 0
; MemoryBound: 0
; FloatMode: 240
; IeeeMode: 1
; LDSByteSize: 0 bytes/workgroup (compile time only)
; SGPRBlocks: 2
; VGPRBlocks: 0
; NumSGPRsForWavesPerEU: 18
; NumVGPRsForWavesPerEU: 8
; Occupancy: 16
; WaveLimiterHint : 1
; COMPUTE_PGM_RSRC2:SCRATCH_EN: 0
; COMPUTE_PGM_RSRC2:USER_SGPR: 14
; COMPUTE_PGM_RSRC2:TRAP_HANDLER: 0
; COMPUTE_PGM_RSRC2:TGID_X_EN: 1
; COMPUTE_PGM_RSRC2:TGID_Y_EN: 0
; COMPUTE_PGM_RSRC2:TGID_Z_EN: 1
; COMPUTE_PGM_RSRC2:TIDIG_COMP_CNT: 0
	.section	.text._ZL19rocblas_axpy_kernelIiLi256EffPKPKfPKPfEviT2_lT3_lT_lT4_lS9_li,"axG",@progbits,_ZL19rocblas_axpy_kernelIiLi256EffPKPKfPKPfEviT2_lT3_lT_lT4_lS9_li,comdat
	.globl	_ZL19rocblas_axpy_kernelIiLi256EffPKPKfPKPfEviT2_lT3_lT_lT4_lS9_li ; -- Begin function _ZL19rocblas_axpy_kernelIiLi256EffPKPKfPKPfEviT2_lT3_lT_lT4_lS9_li
	.p2align	8
	.type	_ZL19rocblas_axpy_kernelIiLi256EffPKPKfPKPfEviT2_lT3_lT_lT4_lS9_li,@function
_ZL19rocblas_axpy_kernelIiLi256EffPKPKfPKPfEviT2_lT3_lT_lT4_lS9_li: ; @_ZL19rocblas_axpy_kernelIiLi256EffPKPKfPKPfEviT2_lT3_lT_lT4_lS9_li
; %bb.0:
	s_load_b64 s[2:3], s[0:1], 0x0
	v_mov_b32_e32 v1, 0
	v_lshl_or_b32 v0, s14, 8, v0
	s_mov_b32 s5, 0
	s_waitcnt lgkmcnt(0)
	s_ashr_i32 s7, s2, 31
	s_mov_b32 s6, s2
	v_cmp_neq_f32_e64 s2, s3, 0
	v_cmp_gt_i64_e32 vcc_lo, s[6:7], v[0:1]
	s_delay_alu instid0(VALU_DEP_2) | instskip(NEXT) | instid1(SALU_CYCLE_1)
	s_and_b32 s2, s2, vcc_lo
	s_and_saveexec_b32 s6, s2
	s_cbranch_execz .LBB81_2
; %bb.1:
	s_clause 0x2
	s_load_b32 s2, s[0:1], 0x20
	s_load_b32 s14, s[0:1], 0x40
	s_load_b128 s[8:11], s[0:1], 0x10
	s_mov_b32 s4, s15
	s_delay_alu instid0(SALU_CYCLE_1)
	s_lshl_b64 s[12:13], s[4:5], 3
	s_waitcnt lgkmcnt(0)
	s_ashr_i32 s15, s2, 31
	s_ashr_i32 s16, s14, 31
	s_add_u32 s4, s8, s12
	s_addc_u32 s5, s9, s13
	v_mad_u64_u32 v[1:2], null, s14, v0, 0
	s_load_b64 s[8:9], s[4:5], 0x0
	s_load_b128 s[4:7], s[0:1], 0x30
	v_mad_u64_u32 v[3:4], null, s2, v0, 0
	s_lshl_b64 s[0:1], s[10:11], 2
	s_delay_alu instid0(VALU_DEP_1) | instskip(NEXT) | instid1(VALU_DEP_1)
	v_mad_u64_u32 v[5:6], null, s16, v0, v[2:3]
	v_mad_u64_u32 v[6:7], null, s15, v0, v[4:5]
	s_waitcnt lgkmcnt(0)
	s_add_u32 s2, s0, s8
	s_addc_u32 s8, s1, s9
	s_add_u32 s0, s4, s12
	s_addc_u32 s1, s5, s13
	v_mov_b32_e32 v2, v5
	s_load_b64 s[0:1], s[0:1], 0x0
	v_mov_b32_e32 v4, v6
	s_lshl_b64 s[4:5], s[6:7], 2
	s_delay_alu instid0(VALU_DEP_2) | instskip(NEXT) | instid1(VALU_DEP_2)
	v_lshlrev_b64 v[0:1], 2, v[1:2]
	v_lshlrev_b64 v[2:3], 2, v[3:4]
	s_waitcnt lgkmcnt(0)
	s_add_u32 s0, s4, s0
	s_addc_u32 s1, s5, s1
	s_delay_alu instid0(VALU_DEP_2)
	v_add_co_u32 v0, vcc_lo, s0, v0
	v_add_co_ci_u32_e32 v1, vcc_lo, s1, v1, vcc_lo
	v_add_co_u32 v2, vcc_lo, s2, v2
	v_add_co_ci_u32_e32 v3, vcc_lo, s8, v3, vcc_lo
	global_load_b32 v4, v[0:1], off
	global_load_b32 v2, v[2:3], off
	s_waitcnt vmcnt(0)
	v_fmac_f32_e32 v4, s3, v2
	global_store_b32 v[0:1], v4, off
.LBB81_2:
	s_nop 0
	s_sendmsg sendmsg(MSG_DEALLOC_VGPRS)
	s_endpgm
	.section	.rodata,"a",@progbits
	.p2align	6, 0x0
	.amdhsa_kernel _ZL19rocblas_axpy_kernelIiLi256EffPKPKfPKPfEviT2_lT3_lT_lT4_lS9_li
		.amdhsa_group_segment_fixed_size 0
		.amdhsa_private_segment_fixed_size 0
		.amdhsa_kernarg_size 84
		.amdhsa_user_sgpr_count 14
		.amdhsa_user_sgpr_dispatch_ptr 0
		.amdhsa_user_sgpr_queue_ptr 0
		.amdhsa_user_sgpr_kernarg_segment_ptr 1
		.amdhsa_user_sgpr_dispatch_id 0
		.amdhsa_user_sgpr_private_segment_size 0
		.amdhsa_wavefront_size32 1
		.amdhsa_uses_dynamic_stack 0
		.amdhsa_enable_private_segment 0
		.amdhsa_system_sgpr_workgroup_id_x 1
		.amdhsa_system_sgpr_workgroup_id_y 0
		.amdhsa_system_sgpr_workgroup_id_z 1
		.amdhsa_system_sgpr_workgroup_info 0
		.amdhsa_system_vgpr_workitem_id 0
		.amdhsa_next_free_vgpr 8
		.amdhsa_next_free_sgpr 17
		.amdhsa_reserve_vcc 1
		.amdhsa_float_round_mode_32 0
		.amdhsa_float_round_mode_16_64 0
		.amdhsa_float_denorm_mode_32 3
		.amdhsa_float_denorm_mode_16_64 3
		.amdhsa_dx10_clamp 1
		.amdhsa_ieee_mode 1
		.amdhsa_fp16_overflow 0
		.amdhsa_workgroup_processor_mode 1
		.amdhsa_memory_ordered 1
		.amdhsa_forward_progress 0
		.amdhsa_shared_vgpr_count 0
		.amdhsa_exception_fp_ieee_invalid_op 0
		.amdhsa_exception_fp_denorm_src 0
		.amdhsa_exception_fp_ieee_div_zero 0
		.amdhsa_exception_fp_ieee_overflow 0
		.amdhsa_exception_fp_ieee_underflow 0
		.amdhsa_exception_fp_ieee_inexact 0
		.amdhsa_exception_int_div_zero 0
	.end_amdhsa_kernel
	.section	.text._ZL19rocblas_axpy_kernelIiLi256EffPKPKfPKPfEviT2_lT3_lT_lT4_lS9_li,"axG",@progbits,_ZL19rocblas_axpy_kernelIiLi256EffPKPKfPKPfEviT2_lT3_lT_lT4_lS9_li,comdat
.Lfunc_end81:
	.size	_ZL19rocblas_axpy_kernelIiLi256EffPKPKfPKPfEviT2_lT3_lT_lT4_lS9_li, .Lfunc_end81-_ZL19rocblas_axpy_kernelIiLi256EffPKPKfPKPfEviT2_lT3_lT_lT4_lS9_li
                                        ; -- End function
	.section	.AMDGPU.csdata,"",@progbits
; Kernel info:
; codeLenInByte = 324
; NumSgprs: 19
; NumVgprs: 8
; ScratchSize: 0
; MemoryBound: 0
; FloatMode: 240
; IeeeMode: 1
; LDSByteSize: 0 bytes/workgroup (compile time only)
; SGPRBlocks: 2
; VGPRBlocks: 0
; NumSGPRsForWavesPerEU: 19
; NumVGPRsForWavesPerEU: 8
; Occupancy: 16
; WaveLimiterHint : 1
; COMPUTE_PGM_RSRC2:SCRATCH_EN: 0
; COMPUTE_PGM_RSRC2:USER_SGPR: 14
; COMPUTE_PGM_RSRC2:TRAP_HANDLER: 0
; COMPUTE_PGM_RSRC2:TGID_X_EN: 1
; COMPUTE_PGM_RSRC2:TGID_Y_EN: 0
; COMPUTE_PGM_RSRC2:TGID_Z_EN: 1
; COMPUTE_PGM_RSRC2:TIDIG_COMP_CNT: 0
	.section	.text._ZL19rocblas_axpy_kernelIlLi256EfPKfPKS1_PKPfEviT2_lT3_lT_lT4_lS9_li,"axG",@progbits,_ZL19rocblas_axpy_kernelIlLi256EfPKfPKS1_PKPfEviT2_lT3_lT_lT4_lS9_li,comdat
	.globl	_ZL19rocblas_axpy_kernelIlLi256EfPKfPKS1_PKPfEviT2_lT3_lT_lT4_lS9_li ; -- Begin function _ZL19rocblas_axpy_kernelIlLi256EfPKfPKS1_PKPfEviT2_lT3_lT_lT4_lS9_li
	.p2align	8
	.type	_ZL19rocblas_axpy_kernelIlLi256EfPKfPKS1_PKPfEviT2_lT3_lT_lT4_lS9_li,@function
_ZL19rocblas_axpy_kernelIlLi256EfPKfPKS1_PKPfEviT2_lT3_lT_lT4_lS9_li: ; @_ZL19rocblas_axpy_kernelIlLi256EfPKfPKS1_PKPfEviT2_lT3_lT_lT4_lS9_li
; %bb.0:
	s_clause 0x1
	s_load_b128 s[4:7], s[0:1], 0x8
	s_load_b32 s10, s[0:1], 0x0
	v_lshl_or_b32 v0, s14, 8, v0
	v_mov_b32_e32 v1, 0
	s_waitcnt lgkmcnt(0)
	s_mul_i32 s3, s15, s7
	s_mul_hi_u32 s7, s15, s6
	s_mul_i32 s6, s15, s6
	s_add_i32 s7, s7, s3
	s_ashr_i32 s11, s10, 31
	s_lshl_b64 s[6:7], s[6:7], 2
	v_cmp_gt_i64_e32 vcc_lo, s[10:11], v[0:1]
	s_add_u32 s4, s4, s6
	s_addc_u32 s5, s5, s7
	s_mov_b32 s3, 0
	s_load_b32 s8, s[4:5], 0x0
	s_waitcnt lgkmcnt(0)
	v_cmp_neq_f32_e64 s4, s8, 0
	s_delay_alu instid0(VALU_DEP_1) | instskip(NEXT) | instid1(SALU_CYCLE_1)
	s_and_b32 s4, vcc_lo, s4
	s_and_saveexec_b32 s5, s4
	s_cbranch_execz .LBB82_2
; %bb.1:
	s_clause 0x1
	s_load_b64 s[10:11], s[0:1], 0x18
	s_load_b128 s[4:7], s[0:1], 0x40
	s_mov_b32 s2, s15
	s_load_b128 s[12:15], s[0:1], 0x20
	s_lshl_b64 s[2:3], s[2:3], 3
	s_waitcnt lgkmcnt(0)
	s_add_u32 s10, s10, s2
	s_addc_u32 s11, s11, s3
	v_mad_u64_u32 v[1:2], null, v0, s6, 0
	s_load_b64 s[10:11], s[10:11], 0x0
	s_load_b64 s[0:1], s[0:1], 0x38
	v_mad_u64_u32 v[3:4], null, v0, s14, 0
	s_lshl_b64 s[12:13], s[12:13], 2
	s_delay_alu instid0(VALU_DEP_1) | instskip(NEXT) | instid1(VALU_DEP_1)
	v_mad_u64_u32 v[5:6], null, v0, s7, v[2:3]
	v_mad_u64_u32 v[6:7], null, v0, s15, v[4:5]
	s_waitcnt lgkmcnt(0)
	s_add_u32 s6, s12, s10
	s_addc_u32 s9, s13, s11
	s_add_u32 s0, s0, s2
	s_addc_u32 s1, s1, s3
	v_mov_b32_e32 v2, v5
	s_load_b64 s[0:1], s[0:1], 0x0
	v_mov_b32_e32 v4, v6
	s_lshl_b64 s[2:3], s[4:5], 2
	s_delay_alu instid0(VALU_DEP_2) | instskip(NEXT) | instid1(VALU_DEP_2)
	v_lshlrev_b64 v[0:1], 2, v[1:2]
	v_lshlrev_b64 v[2:3], 2, v[3:4]
	s_waitcnt lgkmcnt(0)
	s_add_u32 s0, s2, s0
	s_addc_u32 s1, s3, s1
	s_delay_alu instid0(VALU_DEP_2)
	v_add_co_u32 v0, vcc_lo, s0, v0
	v_add_co_ci_u32_e32 v1, vcc_lo, s1, v1, vcc_lo
	v_add_co_u32 v2, vcc_lo, s6, v2
	v_add_co_ci_u32_e32 v3, vcc_lo, s9, v3, vcc_lo
	global_load_b32 v4, v[0:1], off
	global_load_b32 v2, v[2:3], off
	s_waitcnt vmcnt(0)
	v_fmac_f32_e32 v4, s8, v2
	global_store_b32 v[0:1], v4, off
.LBB82_2:
	s_nop 0
	s_sendmsg sendmsg(MSG_DEALLOC_VGPRS)
	s_endpgm
	.section	.rodata,"a",@progbits
	.p2align	6, 0x0
	.amdhsa_kernel _ZL19rocblas_axpy_kernelIlLi256EfPKfPKS1_PKPfEviT2_lT3_lT_lT4_lS9_li
		.amdhsa_group_segment_fixed_size 0
		.amdhsa_private_segment_fixed_size 0
		.amdhsa_kernarg_size 92
		.amdhsa_user_sgpr_count 14
		.amdhsa_user_sgpr_dispatch_ptr 0
		.amdhsa_user_sgpr_queue_ptr 0
		.amdhsa_user_sgpr_kernarg_segment_ptr 1
		.amdhsa_user_sgpr_dispatch_id 0
		.amdhsa_user_sgpr_private_segment_size 0
		.amdhsa_wavefront_size32 1
		.amdhsa_uses_dynamic_stack 0
		.amdhsa_enable_private_segment 0
		.amdhsa_system_sgpr_workgroup_id_x 1
		.amdhsa_system_sgpr_workgroup_id_y 0
		.amdhsa_system_sgpr_workgroup_id_z 1
		.amdhsa_system_sgpr_workgroup_info 0
		.amdhsa_system_vgpr_workitem_id 0
		.amdhsa_next_free_vgpr 8
		.amdhsa_next_free_sgpr 16
		.amdhsa_reserve_vcc 1
		.amdhsa_float_round_mode_32 0
		.amdhsa_float_round_mode_16_64 0
		.amdhsa_float_denorm_mode_32 3
		.amdhsa_float_denorm_mode_16_64 3
		.amdhsa_dx10_clamp 1
		.amdhsa_ieee_mode 1
		.amdhsa_fp16_overflow 0
		.amdhsa_workgroup_processor_mode 1
		.amdhsa_memory_ordered 1
		.amdhsa_forward_progress 0
		.amdhsa_shared_vgpr_count 0
		.amdhsa_exception_fp_ieee_invalid_op 0
		.amdhsa_exception_fp_denorm_src 0
		.amdhsa_exception_fp_ieee_div_zero 0
		.amdhsa_exception_fp_ieee_overflow 0
		.amdhsa_exception_fp_ieee_underflow 0
		.amdhsa_exception_fp_ieee_inexact 0
		.amdhsa_exception_int_div_zero 0
	.end_amdhsa_kernel
	.section	.text._ZL19rocblas_axpy_kernelIlLi256EfPKfPKS1_PKPfEviT2_lT3_lT_lT4_lS9_li,"axG",@progbits,_ZL19rocblas_axpy_kernelIlLi256EfPKfPKS1_PKPfEviT2_lT3_lT_lT4_lS9_li,comdat
.Lfunc_end82:
	.size	_ZL19rocblas_axpy_kernelIlLi256EfPKfPKS1_PKPfEviT2_lT3_lT_lT4_lS9_li, .Lfunc_end82-_ZL19rocblas_axpy_kernelIlLi256EfPKfPKS1_PKPfEviT2_lT3_lT_lT4_lS9_li
                                        ; -- End function
	.section	.AMDGPU.csdata,"",@progbits
; Kernel info:
; codeLenInByte = 360
; NumSgprs: 18
; NumVgprs: 8
; ScratchSize: 0
; MemoryBound: 0
; FloatMode: 240
; IeeeMode: 1
; LDSByteSize: 0 bytes/workgroup (compile time only)
; SGPRBlocks: 2
; VGPRBlocks: 0
; NumSGPRsForWavesPerEU: 18
; NumVGPRsForWavesPerEU: 8
; Occupancy: 16
; WaveLimiterHint : 1
; COMPUTE_PGM_RSRC2:SCRATCH_EN: 0
; COMPUTE_PGM_RSRC2:USER_SGPR: 14
; COMPUTE_PGM_RSRC2:TRAP_HANDLER: 0
; COMPUTE_PGM_RSRC2:TGID_X_EN: 1
; COMPUTE_PGM_RSRC2:TGID_Y_EN: 0
; COMPUTE_PGM_RSRC2:TGID_Z_EN: 1
; COMPUTE_PGM_RSRC2:TIDIG_COMP_CNT: 0
	.section	.text._ZL19rocblas_axpy_kernelIlLi256EffPKPKfPKPfEviT2_lT3_lT_lT4_lS9_li,"axG",@progbits,_ZL19rocblas_axpy_kernelIlLi256EffPKPKfPKPfEviT2_lT3_lT_lT4_lS9_li,comdat
	.globl	_ZL19rocblas_axpy_kernelIlLi256EffPKPKfPKPfEviT2_lT3_lT_lT4_lS9_li ; -- Begin function _ZL19rocblas_axpy_kernelIlLi256EffPKPKfPKPfEviT2_lT3_lT_lT4_lS9_li
	.p2align	8
	.type	_ZL19rocblas_axpy_kernelIlLi256EffPKPKfPKPfEviT2_lT3_lT_lT4_lS9_li,@function
_ZL19rocblas_axpy_kernelIlLi256EffPKPKfPKPfEviT2_lT3_lT_lT4_lS9_li: ; @_ZL19rocblas_axpy_kernelIlLi256EffPKPKfPKPfEviT2_lT3_lT_lT4_lS9_li
; %bb.0:
	s_load_b64 s[2:3], s[0:1], 0x0
	v_mov_b32_e32 v1, 0
	v_lshl_or_b32 v0, s14, 8, v0
	s_mov_b32 s9, 0
	s_waitcnt lgkmcnt(0)
	s_ashr_i32 s5, s2, 31
	s_mov_b32 s4, s2
	v_cmp_neq_f32_e64 s2, s3, 0
	v_cmp_gt_i64_e32 vcc_lo, s[4:5], v[0:1]
	s_delay_alu instid0(VALU_DEP_2) | instskip(NEXT) | instid1(SALU_CYCLE_1)
	s_and_b32 s2, s2, vcc_lo
	s_and_saveexec_b32 s4, s2
	s_cbranch_execz .LBB83_2
; %bb.1:
	s_clause 0x1
	s_load_b64 s[12:13], s[0:1], 0x10
	s_load_b128 s[4:7], s[0:1], 0x38
	s_mov_b32 s8, s15
	s_delay_alu instid0(SALU_CYCLE_1)
	s_lshl_b64 s[14:15], s[8:9], 3
	s_load_b128 s[8:11], s[0:1], 0x18
	s_waitcnt lgkmcnt(0)
	s_add_u32 s12, s12, s14
	s_addc_u32 s13, s13, s15
	v_mad_u64_u32 v[1:2], null, v0, s6, 0
	s_load_b64 s[12:13], s[12:13], 0x0
	s_load_b64 s[0:1], s[0:1], 0x30
	v_mad_u64_u32 v[3:4], null, v0, s10, 0
	s_lshl_b64 s[8:9], s[8:9], 2
	s_delay_alu instid0(VALU_DEP_1) | instskip(NEXT) | instid1(VALU_DEP_1)
	v_mad_u64_u32 v[5:6], null, v0, s7, v[2:3]
	v_mad_u64_u32 v[6:7], null, v0, s11, v[4:5]
	s_waitcnt lgkmcnt(0)
	s_add_u32 s2, s8, s12
	s_addc_u32 s6, s9, s13
	s_add_u32 s0, s0, s14
	s_addc_u32 s1, s1, s15
	v_mov_b32_e32 v2, v5
	s_load_b64 s[0:1], s[0:1], 0x0
	v_mov_b32_e32 v4, v6
	s_lshl_b64 s[4:5], s[4:5], 2
	s_delay_alu instid0(VALU_DEP_2) | instskip(NEXT) | instid1(VALU_DEP_2)
	v_lshlrev_b64 v[0:1], 2, v[1:2]
	v_lshlrev_b64 v[2:3], 2, v[3:4]
	s_waitcnt lgkmcnt(0)
	s_add_u32 s0, s4, s0
	s_addc_u32 s1, s5, s1
	s_delay_alu instid0(VALU_DEP_2)
	v_add_co_u32 v0, vcc_lo, s0, v0
	v_add_co_ci_u32_e32 v1, vcc_lo, s1, v1, vcc_lo
	v_add_co_u32 v2, vcc_lo, s2, v2
	v_add_co_ci_u32_e32 v3, vcc_lo, s6, v3, vcc_lo
	global_load_b32 v4, v[0:1], off
	global_load_b32 v2, v[2:3], off
	s_waitcnt vmcnt(0)
	v_fmac_f32_e32 v4, s3, v2
	global_store_b32 v[0:1], v4, off
.LBB83_2:
	s_nop 0
	s_sendmsg sendmsg(MSG_DEALLOC_VGPRS)
	s_endpgm
	.section	.rodata,"a",@progbits
	.p2align	6, 0x0
	.amdhsa_kernel _ZL19rocblas_axpy_kernelIlLi256EffPKPKfPKPfEviT2_lT3_lT_lT4_lS9_li
		.amdhsa_group_segment_fixed_size 0
		.amdhsa_private_segment_fixed_size 0
		.amdhsa_kernarg_size 84
		.amdhsa_user_sgpr_count 14
		.amdhsa_user_sgpr_dispatch_ptr 0
		.amdhsa_user_sgpr_queue_ptr 0
		.amdhsa_user_sgpr_kernarg_segment_ptr 1
		.amdhsa_user_sgpr_dispatch_id 0
		.amdhsa_user_sgpr_private_segment_size 0
		.amdhsa_wavefront_size32 1
		.amdhsa_uses_dynamic_stack 0
		.amdhsa_enable_private_segment 0
		.amdhsa_system_sgpr_workgroup_id_x 1
		.amdhsa_system_sgpr_workgroup_id_y 0
		.amdhsa_system_sgpr_workgroup_id_z 1
		.amdhsa_system_sgpr_workgroup_info 0
		.amdhsa_system_vgpr_workitem_id 0
		.amdhsa_next_free_vgpr 8
		.amdhsa_next_free_sgpr 16
		.amdhsa_reserve_vcc 1
		.amdhsa_float_round_mode_32 0
		.amdhsa_float_round_mode_16_64 0
		.amdhsa_float_denorm_mode_32 3
		.amdhsa_float_denorm_mode_16_64 3
		.amdhsa_dx10_clamp 1
		.amdhsa_ieee_mode 1
		.amdhsa_fp16_overflow 0
		.amdhsa_workgroup_processor_mode 1
		.amdhsa_memory_ordered 1
		.amdhsa_forward_progress 0
		.amdhsa_shared_vgpr_count 0
		.amdhsa_exception_fp_ieee_invalid_op 0
		.amdhsa_exception_fp_denorm_src 0
		.amdhsa_exception_fp_ieee_div_zero 0
		.amdhsa_exception_fp_ieee_overflow 0
		.amdhsa_exception_fp_ieee_underflow 0
		.amdhsa_exception_fp_ieee_inexact 0
		.amdhsa_exception_int_div_zero 0
	.end_amdhsa_kernel
	.section	.text._ZL19rocblas_axpy_kernelIlLi256EffPKPKfPKPfEviT2_lT3_lT_lT4_lS9_li,"axG",@progbits,_ZL19rocblas_axpy_kernelIlLi256EffPKPKfPKPfEviT2_lT3_lT_lT4_lS9_li,comdat
.Lfunc_end83:
	.size	_ZL19rocblas_axpy_kernelIlLi256EffPKPKfPKPfEviT2_lT3_lT_lT4_lS9_li, .Lfunc_end83-_ZL19rocblas_axpy_kernelIlLi256EffPKPKfPKPfEviT2_lT3_lT_lT4_lS9_li
                                        ; -- End function
	.section	.AMDGPU.csdata,"",@progbits
; Kernel info:
; codeLenInByte = 316
; NumSgprs: 18
; NumVgprs: 8
; ScratchSize: 0
; MemoryBound: 0
; FloatMode: 240
; IeeeMode: 1
; LDSByteSize: 0 bytes/workgroup (compile time only)
; SGPRBlocks: 2
; VGPRBlocks: 0
; NumSGPRsForWavesPerEU: 18
; NumVGPRsForWavesPerEU: 8
; Occupancy: 16
; WaveLimiterHint : 1
; COMPUTE_PGM_RSRC2:SCRATCH_EN: 0
; COMPUTE_PGM_RSRC2:USER_SGPR: 14
; COMPUTE_PGM_RSRC2:TRAP_HANDLER: 0
; COMPUTE_PGM_RSRC2:TGID_X_EN: 1
; COMPUTE_PGM_RSRC2:TGID_Y_EN: 0
; COMPUTE_PGM_RSRC2:TGID_Z_EN: 1
; COMPUTE_PGM_RSRC2:TIDIG_COMP_CNT: 0
	.section	.text._ZL26rocblas_haxpy_mlt_8_kernelILi256EPKDF16_PKPKdPKPdEviT0_lT1_llT2_lli,"axG",@progbits,_ZL26rocblas_haxpy_mlt_8_kernelILi256EPKDF16_PKPKdPKPdEviT0_lT1_llT2_lli,comdat
	.globl	_ZL26rocblas_haxpy_mlt_8_kernelILi256EPKDF16_PKPKdPKPdEviT0_lT1_llT2_lli ; -- Begin function _ZL26rocblas_haxpy_mlt_8_kernelILi256EPKDF16_PKPKdPKPdEviT0_lT1_llT2_lli
	.p2align	8
	.type	_ZL26rocblas_haxpy_mlt_8_kernelILi256EPKDF16_PKPKdPKPdEviT0_lT1_llT2_lli,@function
_ZL26rocblas_haxpy_mlt_8_kernelILi256EPKDF16_PKPKdPKPdEviT0_lT1_llT2_lli: ; @_ZL26rocblas_haxpy_mlt_8_kernelILi256EPKDF16_PKPKdPKPdEviT0_lT1_llT2_lli
; %bb.0:
	s_load_b256 s[4:11], s[0:1], 0x8
	v_mov_b32_e32 v1, 0
	s_waitcnt lgkmcnt(0)
	s_mul_i32 s3, s15, s7
	s_mul_hi_u32 s7, s15, s6
	s_mul_i32 s6, s15, s6
	s_add_i32 s7, s7, s3
	s_mov_b32 s3, 0
	s_lshl_b64 s[6:7], s[6:7], 1
	s_delay_alu instid0(SALU_CYCLE_1) | instskip(SKIP_4) | instid1(VALU_DEP_1)
	s_add_u32 s4, s4, s6
	s_addc_u32 s5, s5, s7
	global_load_u16 v2, v1, s[4:5]
	s_waitcnt vmcnt(0)
	v_and_b32_e32 v3, 0xffff, v2
	v_lshl_or_b32 v3, v2, 16, v3
	s_delay_alu instid0(VALU_DEP_1) | instskip(NEXT) | instid1(VALU_DEP_1)
	v_and_b32_e32 v3, 0x7fff, v3
	v_cmp_eq_u32_e32 vcc_lo, 0, v3
	s_cbranch_vccnz .LBB84_3
; %bb.1:
	s_load_b32 s4, s[0:1], 0x0
	v_lshl_or_b32 v0, s14, 8, v0
	s_delay_alu instid0(VALU_DEP_1)
	v_lshlrev_b64 v[0:1], 3, v[0:1]
	s_waitcnt lgkmcnt(0)
	s_ashr_i32 s5, s4, 31
	s_delay_alu instid0(VALU_DEP_1) | instid1(SALU_CYCLE_1)
	v_cmp_gt_i64_e32 vcc_lo, s[4:5], v[0:1]
	s_and_saveexec_b32 s4, vcc_lo
	s_cbranch_execz .LBB84_3
; %bb.2:
	s_mov_b32 s2, s15
	v_lshlrev_b64 v[0:1], 3, v[0:1]
	s_lshl_b64 s[4:5], s[2:3], 3
	s_delay_alu instid0(SALU_CYCLE_1)
	s_add_u32 s2, s8, s4
	s_addc_u32 s3, s9, s5
	s_lshl_b64 s[8:9], s[10:11], 3
	s_load_b64 s[6:7], s[2:3], 0x0
	s_load_b128 s[0:3], s[0:1], 0x30
	s_waitcnt lgkmcnt(0)
	s_add_u32 s6, s8, s6
	s_addc_u32 s7, s9, s7
	s_add_u32 s0, s0, s4
	s_addc_u32 s1, s1, s5
	s_lshl_b64 s[2:3], s[2:3], 3
	s_load_b64 s[0:1], s[0:1], 0x0
	v_add_co_u32 v3, vcc_lo, s6, v0
	v_add_co_ci_u32_e32 v4, vcc_lo, s7, v1, vcc_lo
	s_waitcnt lgkmcnt(0)
	s_add_u32 s0, s2, s0
	s_addc_u32 s1, s3, s1
	v_add_co_u32 v0, vcc_lo, s0, v0
	v_add_co_ci_u32_e32 v1, vcc_lo, s1, v1, vcc_lo
	global_load_b128 v[3:6], v[3:4], off
	global_load_b128 v[7:10], v[0:1], off
	s_waitcnt vmcnt(0)
	v_pk_fma_f16 v6, v2, v6, v10 op_sel_hi:[0,1,1]
	v_pk_fma_f16 v5, v2, v5, v9 op_sel_hi:[0,1,1]
	v_pk_fma_f16 v4, v2, v4, v8 op_sel_hi:[0,1,1]
	v_pk_fma_f16 v3, v2, v3, v7 op_sel_hi:[0,1,1]
	global_store_b128 v[0:1], v[3:6], off
.LBB84_3:
	s_nop 0
	s_sendmsg sendmsg(MSG_DEALLOC_VGPRS)
	s_endpgm
	.section	.rodata,"a",@progbits
	.p2align	6, 0x0
	.amdhsa_kernel _ZL26rocblas_haxpy_mlt_8_kernelILi256EPKDF16_PKPKdPKPdEviT0_lT1_llT2_lli
		.amdhsa_group_segment_fixed_size 0
		.amdhsa_private_segment_fixed_size 0
		.amdhsa_kernarg_size 76
		.amdhsa_user_sgpr_count 14
		.amdhsa_user_sgpr_dispatch_ptr 0
		.amdhsa_user_sgpr_queue_ptr 0
		.amdhsa_user_sgpr_kernarg_segment_ptr 1
		.amdhsa_user_sgpr_dispatch_id 0
		.amdhsa_user_sgpr_private_segment_size 0
		.amdhsa_wavefront_size32 1
		.amdhsa_uses_dynamic_stack 0
		.amdhsa_enable_private_segment 0
		.amdhsa_system_sgpr_workgroup_id_x 1
		.amdhsa_system_sgpr_workgroup_id_y 0
		.amdhsa_system_sgpr_workgroup_id_z 1
		.amdhsa_system_sgpr_workgroup_info 0
		.amdhsa_system_vgpr_workitem_id 0
		.amdhsa_next_free_vgpr 11
		.amdhsa_next_free_sgpr 16
		.amdhsa_reserve_vcc 1
		.amdhsa_float_round_mode_32 0
		.amdhsa_float_round_mode_16_64 0
		.amdhsa_float_denorm_mode_32 3
		.amdhsa_float_denorm_mode_16_64 3
		.amdhsa_dx10_clamp 1
		.amdhsa_ieee_mode 1
		.amdhsa_fp16_overflow 0
		.amdhsa_workgroup_processor_mode 1
		.amdhsa_memory_ordered 1
		.amdhsa_forward_progress 0
		.amdhsa_shared_vgpr_count 0
		.amdhsa_exception_fp_ieee_invalid_op 0
		.amdhsa_exception_fp_denorm_src 0
		.amdhsa_exception_fp_ieee_div_zero 0
		.amdhsa_exception_fp_ieee_overflow 0
		.amdhsa_exception_fp_ieee_underflow 0
		.amdhsa_exception_fp_ieee_inexact 0
		.amdhsa_exception_int_div_zero 0
	.end_amdhsa_kernel
	.section	.text._ZL26rocblas_haxpy_mlt_8_kernelILi256EPKDF16_PKPKdPKPdEviT0_lT1_llT2_lli,"axG",@progbits,_ZL26rocblas_haxpy_mlt_8_kernelILi256EPKDF16_PKPKdPKPdEviT0_lT1_llT2_lli,comdat
.Lfunc_end84:
	.size	_ZL26rocblas_haxpy_mlt_8_kernelILi256EPKDF16_PKPKdPKPdEviT0_lT1_llT2_lli, .Lfunc_end84-_ZL26rocblas_haxpy_mlt_8_kernelILi256EPKDF16_PKPKdPKPdEviT0_lT1_llT2_lli
                                        ; -- End function
	.section	.AMDGPU.csdata,"",@progbits
; Kernel info:
; codeLenInByte = 340
; NumSgprs: 18
; NumVgprs: 11
; ScratchSize: 0
; MemoryBound: 0
; FloatMode: 240
; IeeeMode: 1
; LDSByteSize: 0 bytes/workgroup (compile time only)
; SGPRBlocks: 2
; VGPRBlocks: 1
; NumSGPRsForWavesPerEU: 18
; NumVGPRsForWavesPerEU: 11
; Occupancy: 16
; WaveLimiterHint : 1
; COMPUTE_PGM_RSRC2:SCRATCH_EN: 0
; COMPUTE_PGM_RSRC2:USER_SGPR: 14
; COMPUTE_PGM_RSRC2:TRAP_HANDLER: 0
; COMPUTE_PGM_RSRC2:TGID_X_EN: 1
; COMPUTE_PGM_RSRC2:TGID_Y_EN: 0
; COMPUTE_PGM_RSRC2:TGID_Z_EN: 1
; COMPUTE_PGM_RSRC2:TIDIG_COMP_CNT: 0
	.section	.text._ZL26rocblas_haxpy_mod_8_kernelILi256EPKdPKS1_PKPdEviT0_lT1_llT2_lli,"axG",@progbits,_ZL26rocblas_haxpy_mod_8_kernelILi256EPKdPKS1_PKPdEviT0_lT1_llT2_lli,comdat
	.globl	_ZL26rocblas_haxpy_mod_8_kernelILi256EPKdPKS1_PKPdEviT0_lT1_llT2_lli ; -- Begin function _ZL26rocblas_haxpy_mod_8_kernelILi256EPKdPKS1_PKPdEviT0_lT1_llT2_lli
	.p2align	8
	.type	_ZL26rocblas_haxpy_mod_8_kernelILi256EPKdPKS1_PKPdEviT0_lT1_llT2_lli,@function
_ZL26rocblas_haxpy_mod_8_kernelILi256EPKdPKS1_PKPdEviT0_lT1_llT2_lli: ; @_ZL26rocblas_haxpy_mod_8_kernelILi256EPKdPKS1_PKPdEviT0_lT1_llT2_lli
; %bb.0:
	s_clause 0x1
	s_load_b256 s[4:11], s[0:1], 0x8
	s_load_b32 s16, s[0:1], 0x0
	v_lshl_or_b32 v0, s14, 8, v0
	v_mov_b32_e32 v1, 0
	s_mov_b32 s13, 0
	s_waitcnt lgkmcnt(0)
	s_mul_i32 s2, s15, s7
	s_mul_hi_u32 s3, s15, s6
	s_ashr_i32 s17, s16, 31
	s_add_i32 s3, s3, s2
	s_mul_i32 s2, s15, s6
	v_cmp_gt_i64_e32 vcc_lo, s[16:17], v[0:1]
	s_lshl_b64 s[2:3], s[2:3], 3
	s_delay_alu instid0(SALU_CYCLE_1) | instskip(SKIP_4) | instid1(VALU_DEP_1)
	s_add_u32 s2, s4, s2
	s_addc_u32 s3, s5, s3
	s_load_b64 s[2:3], s[2:3], 0x0
	s_waitcnt lgkmcnt(0)
	v_cmp_neq_f64_e64 s4, s[2:3], 0
	s_and_b32 s4, vcc_lo, s4
	s_delay_alu instid0(SALU_CYCLE_1)
	s_and_saveexec_b32 s5, s4
	s_cbranch_execz .LBB85_2
; %bb.1:
	s_mov_b32 s12, s15
	v_lshlrev_b64 v[0:1], 3, v[0:1]
	s_lshl_b64 s[12:13], s[12:13], 3
	s_delay_alu instid0(SALU_CYCLE_1)
	s_add_u32 s4, s8, s12
	s_addc_u32 s5, s9, s13
	s_load_b64 s[8:9], s[4:5], 0x0
	s_load_b128 s[4:7], s[0:1], 0x30
	s_lshl_b64 s[0:1], s[10:11], 3
	s_waitcnt lgkmcnt(0)
	s_add_u32 s8, s0, s8
	s_addc_u32 s9, s1, s9
	s_add_u32 s0, s4, s12
	s_addc_u32 s1, s5, s13
	s_lshl_b64 s[4:5], s[6:7], 3
	s_load_b64 s[0:1], s[0:1], 0x0
	v_add_co_u32 v2, vcc_lo, s8, v0
	v_add_co_ci_u32_e32 v3, vcc_lo, s9, v1, vcc_lo
	s_waitcnt lgkmcnt(0)
	s_add_u32 s0, s4, s0
	s_addc_u32 s1, s5, s1
	v_add_co_u32 v0, vcc_lo, s0, v0
	v_add_co_ci_u32_e32 v1, vcc_lo, s1, v1, vcc_lo
	global_load_b64 v[2:3], v[2:3], off
	global_load_b64 v[4:5], v[0:1], off
	s_waitcnt vmcnt(0)
	v_fma_f64 v[2:3], s[2:3], v[2:3], v[4:5]
	global_store_b64 v[0:1], v[2:3], off
.LBB85_2:
	s_nop 0
	s_sendmsg sendmsg(MSG_DEALLOC_VGPRS)
	s_endpgm
	.section	.rodata,"a",@progbits
	.p2align	6, 0x0
	.amdhsa_kernel _ZL26rocblas_haxpy_mod_8_kernelILi256EPKdPKS1_PKPdEviT0_lT1_llT2_lli
		.amdhsa_group_segment_fixed_size 0
		.amdhsa_private_segment_fixed_size 0
		.amdhsa_kernarg_size 76
		.amdhsa_user_sgpr_count 14
		.amdhsa_user_sgpr_dispatch_ptr 0
		.amdhsa_user_sgpr_queue_ptr 0
		.amdhsa_user_sgpr_kernarg_segment_ptr 1
		.amdhsa_user_sgpr_dispatch_id 0
		.amdhsa_user_sgpr_private_segment_size 0
		.amdhsa_wavefront_size32 1
		.amdhsa_uses_dynamic_stack 0
		.amdhsa_enable_private_segment 0
		.amdhsa_system_sgpr_workgroup_id_x 1
		.amdhsa_system_sgpr_workgroup_id_y 0
		.amdhsa_system_sgpr_workgroup_id_z 1
		.amdhsa_system_sgpr_workgroup_info 0
		.amdhsa_system_vgpr_workitem_id 0
		.amdhsa_next_free_vgpr 6
		.amdhsa_next_free_sgpr 18
		.amdhsa_reserve_vcc 1
		.amdhsa_float_round_mode_32 0
		.amdhsa_float_round_mode_16_64 0
		.amdhsa_float_denorm_mode_32 3
		.amdhsa_float_denorm_mode_16_64 3
		.amdhsa_dx10_clamp 1
		.amdhsa_ieee_mode 1
		.amdhsa_fp16_overflow 0
		.amdhsa_workgroup_processor_mode 1
		.amdhsa_memory_ordered 1
		.amdhsa_forward_progress 0
		.amdhsa_shared_vgpr_count 0
		.amdhsa_exception_fp_ieee_invalid_op 0
		.amdhsa_exception_fp_denorm_src 0
		.amdhsa_exception_fp_ieee_div_zero 0
		.amdhsa_exception_fp_ieee_overflow 0
		.amdhsa_exception_fp_ieee_underflow 0
		.amdhsa_exception_fp_ieee_inexact 0
		.amdhsa_exception_int_div_zero 0
	.end_amdhsa_kernel
	.section	.text._ZL26rocblas_haxpy_mod_8_kernelILi256EPKdPKS1_PKPdEviT0_lT1_llT2_lli,"axG",@progbits,_ZL26rocblas_haxpy_mod_8_kernelILi256EPKdPKS1_PKPdEviT0_lT1_llT2_lli,comdat
.Lfunc_end85:
	.size	_ZL26rocblas_haxpy_mod_8_kernelILi256EPKdPKS1_PKPdEviT0_lT1_llT2_lli, .Lfunc_end85-_ZL26rocblas_haxpy_mod_8_kernelILi256EPKdPKS1_PKPdEviT0_lT1_llT2_lli
                                        ; -- End function
	.section	.AMDGPU.csdata,"",@progbits
; Kernel info:
; codeLenInByte = 280
; NumSgprs: 20
; NumVgprs: 6
; ScratchSize: 0
; MemoryBound: 0
; FloatMode: 240
; IeeeMode: 1
; LDSByteSize: 0 bytes/workgroup (compile time only)
; SGPRBlocks: 2
; VGPRBlocks: 0
; NumSGPRsForWavesPerEU: 20
; NumVGPRsForWavesPerEU: 6
; Occupancy: 16
; WaveLimiterHint : 1
; COMPUTE_PGM_RSRC2:SCRATCH_EN: 0
; COMPUTE_PGM_RSRC2:USER_SGPR: 14
; COMPUTE_PGM_RSRC2:TRAP_HANDLER: 0
; COMPUTE_PGM_RSRC2:TGID_X_EN: 1
; COMPUTE_PGM_RSRC2:TGID_Y_EN: 0
; COMPUTE_PGM_RSRC2:TGID_Z_EN: 1
; COMPUTE_PGM_RSRC2:TIDIG_COMP_CNT: 0
	.section	.text._ZL26rocblas_haxpy_mlt_8_kernelILi256EDF16_PKPKdPKPdEviT0_lT1_llT2_lli,"axG",@progbits,_ZL26rocblas_haxpy_mlt_8_kernelILi256EDF16_PKPKdPKPdEviT0_lT1_llT2_lli,comdat
	.globl	_ZL26rocblas_haxpy_mlt_8_kernelILi256EDF16_PKPKdPKPdEviT0_lT1_llT2_lli ; -- Begin function _ZL26rocblas_haxpy_mlt_8_kernelILi256EDF16_PKPKdPKPdEviT0_lT1_llT2_lli
	.p2align	8
	.type	_ZL26rocblas_haxpy_mlt_8_kernelILi256EDF16_PKPKdPKPdEviT0_lT1_llT2_lli,@function
_ZL26rocblas_haxpy_mlt_8_kernelILi256EDF16_PKPKdPKPdEviT0_lT1_llT2_lli: ; @_ZL26rocblas_haxpy_mlt_8_kernelILi256EDF16_PKPKdPKPdEviT0_lT1_llT2_lli
; %bb.0:
	s_load_b64 s[2:3], s[0:1], 0x0
	s_waitcnt lgkmcnt(0)
	s_pack_ll_b32_b16 s5, s3, s3
	s_delay_alu instid0(SALU_CYCLE_1) | instskip(NEXT) | instid1(SALU_CYCLE_1)
	s_and_b32 s5, s5, 0x7fff
	s_cmp_eq_u32 s5, 0
	s_cbranch_scc1 .LBB86_3
; %bb.1:
	v_lshl_or_b32 v0, s14, 8, v0
	v_mov_b32_e32 v1, 0
	s_ashr_i32 s7, s2, 31
	s_mov_b32 s6, s2
	s_mov_b32 s2, exec_lo
	s_delay_alu instid0(VALU_DEP_1) | instskip(NEXT) | instid1(VALU_DEP_1)
	v_lshlrev_b64 v[0:1], 3, v[0:1]
	v_cmpx_gt_i64_e64 s[6:7], v[0:1]
	s_cbranch_execz .LBB86_3
; %bb.2:
	s_load_b128 s[8:11], s[0:1], 0x10
	s_mov_b32 s4, s15
	s_mov_b32 s5, 0
	v_lshlrev_b64 v[0:1], 3, v[0:1]
	s_lshl_b64 s[12:13], s[4:5], 3
	s_load_b128 s[4:7], s[0:1], 0x28
	s_waitcnt lgkmcnt(0)
	s_add_u32 s0, s8, s12
	s_addc_u32 s1, s9, s13
	s_lshl_b64 s[8:9], s[10:11], 3
	s_load_b64 s[0:1], s[0:1], 0x0
	s_waitcnt lgkmcnt(0)
	s_add_u32 s2, s8, s0
	s_addc_u32 s8, s9, s1
	s_add_u32 s0, s4, s12
	s_addc_u32 s1, s5, s13
	s_lshl_b64 s[4:5], s[6:7], 3
	s_load_b64 s[0:1], s[0:1], 0x0
	v_add_co_u32 v2, vcc_lo, s2, v0
	v_add_co_ci_u32_e32 v3, vcc_lo, s8, v1, vcc_lo
	s_waitcnt lgkmcnt(0)
	s_add_u32 s0, s4, s0
	s_addc_u32 s1, s5, s1
	v_add_co_u32 v8, vcc_lo, s0, v0
	v_add_co_ci_u32_e32 v9, vcc_lo, s1, v1, vcc_lo
	global_load_b128 v[0:3], v[2:3], off
	global_load_b128 v[4:7], v[8:9], off
	s_waitcnt vmcnt(0)
	v_pk_fma_f16 v3, s3, v3, v7 op_sel_hi:[0,1,1]
	v_pk_fma_f16 v2, s3, v2, v6 op_sel_hi:[0,1,1]
	;; [unrolled: 1-line block ×4, first 2 shown]
	global_store_b128 v[8:9], v[0:3], off
.LBB86_3:
	s_nop 0
	s_sendmsg sendmsg(MSG_DEALLOC_VGPRS)
	s_endpgm
	.section	.rodata,"a",@progbits
	.p2align	6, 0x0
	.amdhsa_kernel _ZL26rocblas_haxpy_mlt_8_kernelILi256EDF16_PKPKdPKPdEviT0_lT1_llT2_lli
		.amdhsa_group_segment_fixed_size 0
		.amdhsa_private_segment_fixed_size 0
		.amdhsa_kernarg_size 68
		.amdhsa_user_sgpr_count 14
		.amdhsa_user_sgpr_dispatch_ptr 0
		.amdhsa_user_sgpr_queue_ptr 0
		.amdhsa_user_sgpr_kernarg_segment_ptr 1
		.amdhsa_user_sgpr_dispatch_id 0
		.amdhsa_user_sgpr_private_segment_size 0
		.amdhsa_wavefront_size32 1
		.amdhsa_uses_dynamic_stack 0
		.amdhsa_enable_private_segment 0
		.amdhsa_system_sgpr_workgroup_id_x 1
		.amdhsa_system_sgpr_workgroup_id_y 0
		.amdhsa_system_sgpr_workgroup_id_z 1
		.amdhsa_system_sgpr_workgroup_info 0
		.amdhsa_system_vgpr_workitem_id 0
		.amdhsa_next_free_vgpr 10
		.amdhsa_next_free_sgpr 16
		.amdhsa_reserve_vcc 1
		.amdhsa_float_round_mode_32 0
		.amdhsa_float_round_mode_16_64 0
		.amdhsa_float_denorm_mode_32 3
		.amdhsa_float_denorm_mode_16_64 3
		.amdhsa_dx10_clamp 1
		.amdhsa_ieee_mode 1
		.amdhsa_fp16_overflow 0
		.amdhsa_workgroup_processor_mode 1
		.amdhsa_memory_ordered 1
		.amdhsa_forward_progress 0
		.amdhsa_shared_vgpr_count 0
		.amdhsa_exception_fp_ieee_invalid_op 0
		.amdhsa_exception_fp_denorm_src 0
		.amdhsa_exception_fp_ieee_div_zero 0
		.amdhsa_exception_fp_ieee_overflow 0
		.amdhsa_exception_fp_ieee_underflow 0
		.amdhsa_exception_fp_ieee_inexact 0
		.amdhsa_exception_int_div_zero 0
	.end_amdhsa_kernel
	.section	.text._ZL26rocblas_haxpy_mlt_8_kernelILi256EDF16_PKPKdPKPdEviT0_lT1_llT2_lli,"axG",@progbits,_ZL26rocblas_haxpy_mlt_8_kernelILi256EDF16_PKPKdPKPdEviT0_lT1_llT2_lli,comdat
.Lfunc_end86:
	.size	_ZL26rocblas_haxpy_mlt_8_kernelILi256EDF16_PKPKdPKPdEviT0_lT1_llT2_lli, .Lfunc_end86-_ZL26rocblas_haxpy_mlt_8_kernelILi256EDF16_PKPKdPKPdEviT0_lT1_llT2_lli
                                        ; -- End function
	.section	.AMDGPU.csdata,"",@progbits
; Kernel info:
; codeLenInByte = 284
; NumSgprs: 18
; NumVgprs: 10
; ScratchSize: 0
; MemoryBound: 0
; FloatMode: 240
; IeeeMode: 1
; LDSByteSize: 0 bytes/workgroup (compile time only)
; SGPRBlocks: 2
; VGPRBlocks: 1
; NumSGPRsForWavesPerEU: 18
; NumVGPRsForWavesPerEU: 10
; Occupancy: 16
; WaveLimiterHint : 1
; COMPUTE_PGM_RSRC2:SCRATCH_EN: 0
; COMPUTE_PGM_RSRC2:USER_SGPR: 14
; COMPUTE_PGM_RSRC2:TRAP_HANDLER: 0
; COMPUTE_PGM_RSRC2:TGID_X_EN: 1
; COMPUTE_PGM_RSRC2:TGID_Y_EN: 0
; COMPUTE_PGM_RSRC2:TGID_Z_EN: 1
; COMPUTE_PGM_RSRC2:TIDIG_COMP_CNT: 0
	.section	.text._ZL26rocblas_haxpy_mod_8_kernelILi256EdPKPKdPKPdEviT0_lT1_llT2_lli,"axG",@progbits,_ZL26rocblas_haxpy_mod_8_kernelILi256EdPKPKdPKPdEviT0_lT1_llT2_lli,comdat
	.globl	_ZL26rocblas_haxpy_mod_8_kernelILi256EdPKPKdPKPdEviT0_lT1_llT2_lli ; -- Begin function _ZL26rocblas_haxpy_mod_8_kernelILi256EdPKPKdPKPdEviT0_lT1_llT2_lli
	.p2align	8
	.type	_ZL26rocblas_haxpy_mod_8_kernelILi256EdPKPKdPKPdEviT0_lT1_llT2_lli,@function
_ZL26rocblas_haxpy_mod_8_kernelILi256EdPKPKdPKPdEviT0_lT1_llT2_lli: ; @_ZL26rocblas_haxpy_mod_8_kernelILi256EdPKPKdPKPdEviT0_lT1_llT2_lli
; %bb.0:
	s_clause 0x1
	s_load_b64 s[2:3], s[0:1], 0x8
	s_load_b32 s6, s[0:1], 0x0
	v_lshl_or_b32 v0, s14, 8, v0
	v_mov_b32_e32 v1, 0
	s_waitcnt lgkmcnt(0)
	v_cmp_neq_f64_e64 s5, s[2:3], 0
	s_ashr_i32 s7, s6, 31
	s_delay_alu instid0(VALU_DEP_2) | instid1(SALU_CYCLE_1)
	v_cmp_gt_i64_e32 vcc_lo, s[6:7], v[0:1]
	s_delay_alu instid0(VALU_DEP_2) | instskip(NEXT) | instid1(SALU_CYCLE_1)
	s_and_b32 s5, s5, vcc_lo
	s_and_saveexec_b32 s6, s5
	s_cbranch_execz .LBB87_2
; %bb.1:
	s_load_b128 s[8:11], s[0:1], 0x18
	s_mov_b32 s4, s15
	s_mov_b32 s5, 0
	v_lshlrev_b64 v[0:1], 3, v[0:1]
	s_lshl_b64 s[12:13], s[4:5], 3
	s_load_b128 s[4:7], s[0:1], 0x30
	s_waitcnt lgkmcnt(0)
	s_add_u32 s0, s8, s12
	s_addc_u32 s1, s9, s13
	s_lshl_b64 s[8:9], s[10:11], 3
	s_load_b64 s[0:1], s[0:1], 0x0
	s_waitcnt lgkmcnt(0)
	s_add_u32 s8, s8, s0
	s_addc_u32 s9, s9, s1
	s_add_u32 s0, s4, s12
	s_addc_u32 s1, s5, s13
	s_lshl_b64 s[4:5], s[6:7], 3
	s_load_b64 s[0:1], s[0:1], 0x0
	v_add_co_u32 v2, vcc_lo, s8, v0
	v_add_co_ci_u32_e32 v3, vcc_lo, s9, v1, vcc_lo
	s_waitcnt lgkmcnt(0)
	s_add_u32 s0, s4, s0
	s_addc_u32 s1, s5, s1
	v_add_co_u32 v0, vcc_lo, s0, v0
	v_add_co_ci_u32_e32 v1, vcc_lo, s1, v1, vcc_lo
	global_load_b64 v[2:3], v[2:3], off
	global_load_b64 v[4:5], v[0:1], off
	s_waitcnt vmcnt(0)
	v_fma_f64 v[2:3], v[2:3], s[2:3], v[4:5]
	global_store_b64 v[0:1], v[2:3], off
.LBB87_2:
	s_nop 0
	s_sendmsg sendmsg(MSG_DEALLOC_VGPRS)
	s_endpgm
	.section	.rodata,"a",@progbits
	.p2align	6, 0x0
	.amdhsa_kernel _ZL26rocblas_haxpy_mod_8_kernelILi256EdPKPKdPKPdEviT0_lT1_llT2_lli
		.amdhsa_group_segment_fixed_size 0
		.amdhsa_private_segment_fixed_size 0
		.amdhsa_kernarg_size 76
		.amdhsa_user_sgpr_count 14
		.amdhsa_user_sgpr_dispatch_ptr 0
		.amdhsa_user_sgpr_queue_ptr 0
		.amdhsa_user_sgpr_kernarg_segment_ptr 1
		.amdhsa_user_sgpr_dispatch_id 0
		.amdhsa_user_sgpr_private_segment_size 0
		.amdhsa_wavefront_size32 1
		.amdhsa_uses_dynamic_stack 0
		.amdhsa_enable_private_segment 0
		.amdhsa_system_sgpr_workgroup_id_x 1
		.amdhsa_system_sgpr_workgroup_id_y 0
		.amdhsa_system_sgpr_workgroup_id_z 1
		.amdhsa_system_sgpr_workgroup_info 0
		.amdhsa_system_vgpr_workitem_id 0
		.amdhsa_next_free_vgpr 6
		.amdhsa_next_free_sgpr 16
		.amdhsa_reserve_vcc 1
		.amdhsa_float_round_mode_32 0
		.amdhsa_float_round_mode_16_64 0
		.amdhsa_float_denorm_mode_32 3
		.amdhsa_float_denorm_mode_16_64 3
		.amdhsa_dx10_clamp 1
		.amdhsa_ieee_mode 1
		.amdhsa_fp16_overflow 0
		.amdhsa_workgroup_processor_mode 1
		.amdhsa_memory_ordered 1
		.amdhsa_forward_progress 0
		.amdhsa_shared_vgpr_count 0
		.amdhsa_exception_fp_ieee_invalid_op 0
		.amdhsa_exception_fp_denorm_src 0
		.amdhsa_exception_fp_ieee_div_zero 0
		.amdhsa_exception_fp_ieee_overflow 0
		.amdhsa_exception_fp_ieee_underflow 0
		.amdhsa_exception_fp_ieee_inexact 0
		.amdhsa_exception_int_div_zero 0
	.end_amdhsa_kernel
	.section	.text._ZL26rocblas_haxpy_mod_8_kernelILi256EdPKPKdPKPdEviT0_lT1_llT2_lli,"axG",@progbits,_ZL26rocblas_haxpy_mod_8_kernelILi256EdPKPKdPKPdEviT0_lT1_llT2_lli,comdat
.Lfunc_end87:
	.size	_ZL26rocblas_haxpy_mod_8_kernelILi256EdPKPKdPKPdEviT0_lT1_llT2_lli, .Lfunc_end87-_ZL26rocblas_haxpy_mod_8_kernelILi256EdPKPKdPKPdEviT0_lT1_llT2_lli
                                        ; -- End function
	.section	.AMDGPU.csdata,"",@progbits
; Kernel info:
; codeLenInByte = 248
; NumSgprs: 18
; NumVgprs: 6
; ScratchSize: 0
; MemoryBound: 0
; FloatMode: 240
; IeeeMode: 1
; LDSByteSize: 0 bytes/workgroup (compile time only)
; SGPRBlocks: 2
; VGPRBlocks: 0
; NumSGPRsForWavesPerEU: 18
; NumVGPRsForWavesPerEU: 6
; Occupancy: 16
; WaveLimiterHint : 1
; COMPUTE_PGM_RSRC2:SCRATCH_EN: 0
; COMPUTE_PGM_RSRC2:USER_SGPR: 14
; COMPUTE_PGM_RSRC2:TRAP_HANDLER: 0
; COMPUTE_PGM_RSRC2:TGID_X_EN: 1
; COMPUTE_PGM_RSRC2:TGID_Y_EN: 0
; COMPUTE_PGM_RSRC2:TGID_Z_EN: 1
; COMPUTE_PGM_RSRC2:TIDIG_COMP_CNT: 0
	.section	.text._ZL22rocblas_saxpy_2_kernelILi256EdPKdPKS1_PKPdEviT1_lT2_llT3_lli,"axG",@progbits,_ZL22rocblas_saxpy_2_kernelILi256EdPKdPKS1_PKPdEviT1_lT2_llT3_lli,comdat
	.globl	_ZL22rocblas_saxpy_2_kernelILi256EdPKdPKS1_PKPdEviT1_lT2_llT3_lli ; -- Begin function _ZL22rocblas_saxpy_2_kernelILi256EdPKdPKS1_PKPdEviT1_lT2_llT3_lli
	.p2align	8
	.type	_ZL22rocblas_saxpy_2_kernelILi256EdPKdPKS1_PKPdEviT1_lT2_llT3_lli,@function
_ZL22rocblas_saxpy_2_kernelILi256EdPKdPKS1_PKPdEviT1_lT2_llT3_lli: ; @_ZL22rocblas_saxpy_2_kernelILi256EdPKdPKS1_PKPdEviT1_lT2_llT3_lli
; %bb.0:
	s_load_b128 s[8:11], s[0:1], 0x8
	s_waitcnt lgkmcnt(0)
	s_mul_i32 s2, s15, s11
	s_mul_hi_u32 s3, s15, s10
	s_delay_alu instid0(SALU_CYCLE_1) | instskip(SKIP_1) | instid1(SALU_CYCLE_1)
	s_add_i32 s3, s3, s2
	s_mul_i32 s2, s15, s10
	s_lshl_b64 s[2:3], s[2:3], 3
	s_delay_alu instid0(SALU_CYCLE_1) | instskip(SKIP_4) | instid1(VALU_DEP_1)
	s_add_u32 s2, s8, s2
	s_addc_u32 s3, s9, s3
	s_load_b64 s[2:3], s[2:3], 0x0
	s_waitcnt lgkmcnt(0)
	v_cmp_eq_f64_e64 s5, s[2:3], 0
	s_and_b32 vcc_lo, exec_lo, s5
	s_cbranch_vccnz .LBB88_5
; %bb.1:
	s_clause 0x1
	s_load_b128 s[8:11], s[0:1], 0x18
	s_load_b32 s6, s[0:1], 0x0
	s_mov_b32 s4, s15
	s_mov_b32 s5, 0
	v_dual_mov_b32 v3, 0 :: v_dual_lshlrev_b32 v0, 1, v0
	s_lshl_b64 s[12:13], s[4:5], 3
	s_delay_alu instid0(VALU_DEP_1) | instskip(NEXT) | instid1(VALU_DEP_1)
	v_lshl_or_b32 v2, s14, 9, v0
	v_lshlrev_b64 v[0:1], 3, v[2:3]
	s_waitcnt lgkmcnt(0)
	s_add_u32 s4, s8, s12
	s_addc_u32 s5, s9, s13
	s_load_b64 s[4:5], s[4:5], 0x0
	s_load_b128 s[16:19], s[0:1], 0x30
	s_lshl_b64 s[0:1], s[10:11], 3
	s_waitcnt lgkmcnt(0)
	s_add_u32 s4, s4, s0
	s_addc_u32 s5, s5, s1
	s_add_u32 s0, s16, s12
	s_addc_u32 s1, s17, s13
	s_lshl_b64 s[8:9], s[18:19], 3
	s_load_b64 s[0:1], s[0:1], 0x0
	s_waitcnt lgkmcnt(0)
	s_add_u32 s7, s0, s8
	s_addc_u32 s8, s1, s9
	s_add_i32 s0, s6, -1
	s_mov_b32 s9, exec_lo
	s_ashr_i32 s1, s0, 31
	s_delay_alu instid0(SALU_CYCLE_1)
	v_cmpx_gt_i64_e64 s[0:1], v[2:3]
	s_cbranch_execz .LBB88_3
; %bb.2:
	v_add_co_u32 v8, vcc_lo, s7, v0
	v_add_co_ci_u32_e32 v9, vcc_lo, s8, v1, vcc_lo
	v_add_co_u32 v10, vcc_lo, s4, v0
	v_add_co_ci_u32_e32 v11, vcc_lo, s5, v1, vcc_lo
	global_load_b128 v[4:7], v[8:9], off
	global_load_b64 v[12:13], v[10:11], off
	s_waitcnt vmcnt(0)
	v_fma_f64 v[4:5], s[2:3], v[12:13], v[4:5]
	global_store_b64 v[8:9], v[4:5], off
	global_load_b64 v[4:5], v[10:11], off offset:8
	s_waitcnt vmcnt(0)
	v_fma_f64 v[4:5], s[2:3], v[4:5], v[6:7]
	global_store_b64 v[8:9], v[4:5], off offset:8
.LBB88_3:
	s_or_b32 exec_lo, exec_lo, s9
	v_cmp_eq_u64_e32 vcc_lo, s[0:1], v[2:3]
	s_bitcmp1_b32 s6, 0
	s_cselect_b32 s0, -1, 0
	s_delay_alu instid0(SALU_CYCLE_1) | instskip(NEXT) | instid1(SALU_CYCLE_1)
	s_and_b32 s0, s0, vcc_lo
	s_and_saveexec_b32 s1, s0
	s_cbranch_execz .LBB88_5
; %bb.4:
	v_add_co_u32 v2, vcc_lo, s7, v0
	v_add_co_ci_u32_e32 v3, vcc_lo, s8, v1, vcc_lo
	v_add_co_u32 v0, vcc_lo, s4, v0
	v_add_co_ci_u32_e32 v1, vcc_lo, s5, v1, vcc_lo
	global_load_b64 v[4:5], v[2:3], off
	global_load_b64 v[0:1], v[0:1], off
	s_waitcnt vmcnt(0)
	v_fma_f64 v[0:1], s[2:3], v[0:1], v[4:5]
	global_store_b64 v[2:3], v[0:1], off
.LBB88_5:
	s_nop 0
	s_sendmsg sendmsg(MSG_DEALLOC_VGPRS)
	s_endpgm
	.section	.rodata,"a",@progbits
	.p2align	6, 0x0
	.amdhsa_kernel _ZL22rocblas_saxpy_2_kernelILi256EdPKdPKS1_PKPdEviT1_lT2_llT3_lli
		.amdhsa_group_segment_fixed_size 0
		.amdhsa_private_segment_fixed_size 0
		.amdhsa_kernarg_size 76
		.amdhsa_user_sgpr_count 14
		.amdhsa_user_sgpr_dispatch_ptr 0
		.amdhsa_user_sgpr_queue_ptr 0
		.amdhsa_user_sgpr_kernarg_segment_ptr 1
		.amdhsa_user_sgpr_dispatch_id 0
		.amdhsa_user_sgpr_private_segment_size 0
		.amdhsa_wavefront_size32 1
		.amdhsa_uses_dynamic_stack 0
		.amdhsa_enable_private_segment 0
		.amdhsa_system_sgpr_workgroup_id_x 1
		.amdhsa_system_sgpr_workgroup_id_y 0
		.amdhsa_system_sgpr_workgroup_id_z 1
		.amdhsa_system_sgpr_workgroup_info 0
		.amdhsa_system_vgpr_workitem_id 0
		.amdhsa_next_free_vgpr 14
		.amdhsa_next_free_sgpr 20
		.amdhsa_reserve_vcc 1
		.amdhsa_float_round_mode_32 0
		.amdhsa_float_round_mode_16_64 0
		.amdhsa_float_denorm_mode_32 3
		.amdhsa_float_denorm_mode_16_64 3
		.amdhsa_dx10_clamp 1
		.amdhsa_ieee_mode 1
		.amdhsa_fp16_overflow 0
		.amdhsa_workgroup_processor_mode 1
		.amdhsa_memory_ordered 1
		.amdhsa_forward_progress 0
		.amdhsa_shared_vgpr_count 0
		.amdhsa_exception_fp_ieee_invalid_op 0
		.amdhsa_exception_fp_denorm_src 0
		.amdhsa_exception_fp_ieee_div_zero 0
		.amdhsa_exception_fp_ieee_overflow 0
		.amdhsa_exception_fp_ieee_underflow 0
		.amdhsa_exception_fp_ieee_inexact 0
		.amdhsa_exception_int_div_zero 0
	.end_amdhsa_kernel
	.section	.text._ZL22rocblas_saxpy_2_kernelILi256EdPKdPKS1_PKPdEviT1_lT2_llT3_lli,"axG",@progbits,_ZL22rocblas_saxpy_2_kernelILi256EdPKdPKS1_PKPdEviT1_lT2_llT3_lli,comdat
.Lfunc_end88:
	.size	_ZL22rocblas_saxpy_2_kernelILi256EdPKdPKS1_PKPdEviT1_lT2_llT3_lli, .Lfunc_end88-_ZL22rocblas_saxpy_2_kernelILi256EdPKdPKS1_PKPdEviT1_lT2_llT3_lli
                                        ; -- End function
	.section	.AMDGPU.csdata,"",@progbits
; Kernel info:
; codeLenInByte = 432
; NumSgprs: 22
; NumVgprs: 14
; ScratchSize: 0
; MemoryBound: 0
; FloatMode: 240
; IeeeMode: 1
; LDSByteSize: 0 bytes/workgroup (compile time only)
; SGPRBlocks: 2
; VGPRBlocks: 1
; NumSGPRsForWavesPerEU: 22
; NumVGPRsForWavesPerEU: 14
; Occupancy: 16
; WaveLimiterHint : 1
; COMPUTE_PGM_RSRC2:SCRATCH_EN: 0
; COMPUTE_PGM_RSRC2:USER_SGPR: 14
; COMPUTE_PGM_RSRC2:TRAP_HANDLER: 0
; COMPUTE_PGM_RSRC2:TGID_X_EN: 1
; COMPUTE_PGM_RSRC2:TGID_Y_EN: 0
; COMPUTE_PGM_RSRC2:TGID_Z_EN: 1
; COMPUTE_PGM_RSRC2:TIDIG_COMP_CNT: 0
	.section	.text._ZL22rocblas_saxpy_2_kernelILi256EddPKPKdPKPdEviT1_lT2_llT3_lli,"axG",@progbits,_ZL22rocblas_saxpy_2_kernelILi256EddPKPKdPKPdEviT1_lT2_llT3_lli,comdat
	.globl	_ZL22rocblas_saxpy_2_kernelILi256EddPKPKdPKPdEviT1_lT2_llT3_lli ; -- Begin function _ZL22rocblas_saxpy_2_kernelILi256EddPKPKdPKPdEviT1_lT2_llT3_lli
	.p2align	8
	.type	_ZL22rocblas_saxpy_2_kernelILi256EddPKPKdPKPdEviT1_lT2_llT3_lli,@function
_ZL22rocblas_saxpy_2_kernelILi256EddPKPKdPKPdEviT1_lT2_llT3_lli: ; @_ZL22rocblas_saxpy_2_kernelILi256EddPKPKdPKPdEviT1_lT2_llT3_lli
; %bb.0:
	s_load_b64 s[2:3], s[0:1], 0x8
	s_waitcnt lgkmcnt(0)
	v_cmp_eq_f64_e64 s5, s[2:3], 0
	s_delay_alu instid0(VALU_DEP_1)
	s_and_b32 vcc_lo, exec_lo, s5
	s_cbranch_vccnz .LBB89_5
; %bb.1:
	s_clause 0x1
	s_load_b128 s[8:11], s[0:1], 0x18
	s_load_b32 s6, s[0:1], 0x0
	s_mov_b32 s4, s15
	s_mov_b32 s5, 0
	v_dual_mov_b32 v3, 0 :: v_dual_lshlrev_b32 v0, 1, v0
	s_lshl_b64 s[12:13], s[4:5], 3
	s_delay_alu instid0(VALU_DEP_1) | instskip(NEXT) | instid1(VALU_DEP_1)
	v_lshl_or_b32 v2, s14, 9, v0
	v_lshlrev_b64 v[0:1], 3, v[2:3]
	s_waitcnt lgkmcnt(0)
	s_add_u32 s4, s8, s12
	s_addc_u32 s5, s9, s13
	s_load_b64 s[4:5], s[4:5], 0x0
	s_load_b128 s[16:19], s[0:1], 0x30
	s_lshl_b64 s[0:1], s[10:11], 3
	s_waitcnt lgkmcnt(0)
	s_add_u32 s4, s4, s0
	s_addc_u32 s5, s5, s1
	s_add_u32 s0, s16, s12
	s_addc_u32 s1, s17, s13
	s_lshl_b64 s[8:9], s[18:19], 3
	s_load_b64 s[0:1], s[0:1], 0x0
	s_waitcnt lgkmcnt(0)
	s_add_u32 s7, s0, s8
	s_addc_u32 s8, s1, s9
	s_add_i32 s0, s6, -1
	s_mov_b32 s9, exec_lo
	s_ashr_i32 s1, s0, 31
	s_delay_alu instid0(SALU_CYCLE_1)
	v_cmpx_gt_i64_e64 s[0:1], v[2:3]
	s_cbranch_execz .LBB89_3
; %bb.2:
	v_add_co_u32 v8, vcc_lo, s7, v0
	v_add_co_ci_u32_e32 v9, vcc_lo, s8, v1, vcc_lo
	v_add_co_u32 v10, vcc_lo, s4, v0
	v_add_co_ci_u32_e32 v11, vcc_lo, s5, v1, vcc_lo
	global_load_b128 v[4:7], v[8:9], off
	global_load_b64 v[12:13], v[10:11], off
	s_waitcnt vmcnt(0)
	v_fma_f64 v[4:5], v[12:13], s[2:3], v[4:5]
	global_store_b64 v[8:9], v[4:5], off
	global_load_b64 v[4:5], v[10:11], off offset:8
	s_waitcnt vmcnt(0)
	v_fma_f64 v[4:5], v[4:5], s[2:3], v[6:7]
	global_store_b64 v[8:9], v[4:5], off offset:8
.LBB89_3:
	s_or_b32 exec_lo, exec_lo, s9
	v_cmp_eq_u64_e32 vcc_lo, s[0:1], v[2:3]
	s_bitcmp1_b32 s6, 0
	s_cselect_b32 s0, -1, 0
	s_delay_alu instid0(SALU_CYCLE_1) | instskip(NEXT) | instid1(SALU_CYCLE_1)
	s_and_b32 s0, s0, vcc_lo
	s_and_saveexec_b32 s1, s0
	s_cbranch_execz .LBB89_5
; %bb.4:
	v_add_co_u32 v2, vcc_lo, s7, v0
	v_add_co_ci_u32_e32 v3, vcc_lo, s8, v1, vcc_lo
	v_add_co_u32 v0, vcc_lo, s4, v0
	v_add_co_ci_u32_e32 v1, vcc_lo, s5, v1, vcc_lo
	global_load_b64 v[4:5], v[2:3], off
	global_load_b64 v[0:1], v[0:1], off
	s_waitcnt vmcnt(0)
	v_fma_f64 v[0:1], v[0:1], s[2:3], v[4:5]
	global_store_b64 v[2:3], v[0:1], off
.LBB89_5:
	s_nop 0
	s_sendmsg sendmsg(MSG_DEALLOC_VGPRS)
	s_endpgm
	.section	.rodata,"a",@progbits
	.p2align	6, 0x0
	.amdhsa_kernel _ZL22rocblas_saxpy_2_kernelILi256EddPKPKdPKPdEviT1_lT2_llT3_lli
		.amdhsa_group_segment_fixed_size 0
		.amdhsa_private_segment_fixed_size 0
		.amdhsa_kernarg_size 76
		.amdhsa_user_sgpr_count 14
		.amdhsa_user_sgpr_dispatch_ptr 0
		.amdhsa_user_sgpr_queue_ptr 0
		.amdhsa_user_sgpr_kernarg_segment_ptr 1
		.amdhsa_user_sgpr_dispatch_id 0
		.amdhsa_user_sgpr_private_segment_size 0
		.amdhsa_wavefront_size32 1
		.amdhsa_uses_dynamic_stack 0
		.amdhsa_enable_private_segment 0
		.amdhsa_system_sgpr_workgroup_id_x 1
		.amdhsa_system_sgpr_workgroup_id_y 0
		.amdhsa_system_sgpr_workgroup_id_z 1
		.amdhsa_system_sgpr_workgroup_info 0
		.amdhsa_system_vgpr_workitem_id 0
		.amdhsa_next_free_vgpr 14
		.amdhsa_next_free_sgpr 20
		.amdhsa_reserve_vcc 1
		.amdhsa_float_round_mode_32 0
		.amdhsa_float_round_mode_16_64 0
		.amdhsa_float_denorm_mode_32 3
		.amdhsa_float_denorm_mode_16_64 3
		.amdhsa_dx10_clamp 1
		.amdhsa_ieee_mode 1
		.amdhsa_fp16_overflow 0
		.amdhsa_workgroup_processor_mode 1
		.amdhsa_memory_ordered 1
		.amdhsa_forward_progress 0
		.amdhsa_shared_vgpr_count 0
		.amdhsa_exception_fp_ieee_invalid_op 0
		.amdhsa_exception_fp_denorm_src 0
		.amdhsa_exception_fp_ieee_div_zero 0
		.amdhsa_exception_fp_ieee_overflow 0
		.amdhsa_exception_fp_ieee_underflow 0
		.amdhsa_exception_fp_ieee_inexact 0
		.amdhsa_exception_int_div_zero 0
	.end_amdhsa_kernel
	.section	.text._ZL22rocblas_saxpy_2_kernelILi256EddPKPKdPKPdEviT1_lT2_llT3_lli,"axG",@progbits,_ZL22rocblas_saxpy_2_kernelILi256EddPKPKdPKPdEviT1_lT2_llT3_lli,comdat
.Lfunc_end89:
	.size	_ZL22rocblas_saxpy_2_kernelILi256EddPKPKdPKPdEviT1_lT2_llT3_lli, .Lfunc_end89-_ZL22rocblas_saxpy_2_kernelILi256EddPKPKdPKPdEviT1_lT2_llT3_lli
                                        ; -- End function
	.section	.AMDGPU.csdata,"",@progbits
; Kernel info:
; codeLenInByte = 388
; NumSgprs: 22
; NumVgprs: 14
; ScratchSize: 0
; MemoryBound: 0
; FloatMode: 240
; IeeeMode: 1
; LDSByteSize: 0 bytes/workgroup (compile time only)
; SGPRBlocks: 2
; VGPRBlocks: 1
; NumSGPRsForWavesPerEU: 22
; NumVGPRsForWavesPerEU: 14
; Occupancy: 16
; WaveLimiterHint : 1
; COMPUTE_PGM_RSRC2:SCRATCH_EN: 0
; COMPUTE_PGM_RSRC2:USER_SGPR: 14
; COMPUTE_PGM_RSRC2:TRAP_HANDLER: 0
; COMPUTE_PGM_RSRC2:TGID_X_EN: 1
; COMPUTE_PGM_RSRC2:TGID_Y_EN: 0
; COMPUTE_PGM_RSRC2:TGID_Z_EN: 1
; COMPUTE_PGM_RSRC2:TIDIG_COMP_CNT: 0
	.section	.text._ZL27rocblas_axpy_kernel_batchedIiLi128ELi8EdPKdPKS1_PKPdEviT3_lT4_lT_lT5_lS9_li,"axG",@progbits,_ZL27rocblas_axpy_kernel_batchedIiLi128ELi8EdPKdPKS1_PKPdEviT3_lT4_lT_lT5_lS9_li,comdat
	.globl	_ZL27rocblas_axpy_kernel_batchedIiLi128ELi8EdPKdPKS1_PKPdEviT3_lT4_lT_lT5_lS9_li ; -- Begin function _ZL27rocblas_axpy_kernel_batchedIiLi128ELi8EdPKdPKS1_PKPdEviT3_lT4_lT_lT5_lS9_li
	.p2align	8
	.type	_ZL27rocblas_axpy_kernel_batchedIiLi128ELi8EdPKdPKS1_PKPdEviT3_lT4_lT_lT5_lS9_li,@function
_ZL27rocblas_axpy_kernel_batchedIiLi128ELi8EdPKdPKS1_PKPdEviT3_lT4_lT_lT5_lS9_li: ; @_ZL27rocblas_axpy_kernel_batchedIiLi128ELi8EdPKdPKS1_PKPdEviT3_lT4_lT_lT5_lS9_li
; %bb.0:
	s_load_b32 s2, s[0:1], 0x0
	v_dual_mov_b32 v6, 0 :: v_dual_and_b32 v1, 0x3ff, v0
	s_delay_alu instid0(VALU_DEP_1)
	v_lshl_add_u32 v5, s14, 7, v1
	s_waitcnt lgkmcnt(0)
	s_ashr_i32 s3, s2, 31
	s_delay_alu instid0(VALU_DEP_1) | instid1(SALU_CYCLE_1)
	v_cmp_gt_i64_e32 vcc_lo, s[2:3], v[5:6]
	s_and_saveexec_b32 s2, vcc_lo
	s_cbranch_execz .LBB90_13
; %bb.1:
	s_clause 0x3
	s_load_b32 s13, s[0:1], 0x28
	s_load_b32 s14, s[0:1], 0x48
	s_load_b128 s[8:11], s[0:1], 0x38
	s_load_b32 s12, s[0:1], 0x58
	v_bfe_u32 v0, v0, 10, 10
	s_load_b256 s[0:7], s[0:1], 0x8
	s_waitcnt lgkmcnt(0)
	v_mad_u64_u32 v[1:2], null, s13, v5, 0
	v_mad_u64_u32 v[3:4], null, s14, v5, 0
	v_lshlrev_b32_e32 v9, 2, v0
	s_ashr_i32 s13, s13, 31
	s_ashr_i32 s14, s14, 31
	s_delay_alu instid0(VALU_DEP_3) | instskip(NEXT) | instid1(VALU_DEP_3)
	v_mov_b32_e32 v0, v2
	v_mov_b32_e32 v2, v4
	s_delay_alu instid0(VALU_DEP_2) | instskip(NEXT) | instid1(VALU_DEP_2)
	v_mad_u64_u32 v[6:7], null, s13, v5, v[0:1]
	v_mad_u64_u32 v[7:8], null, s14, v5, v[2:3]
	v_lshl_add_u32 v5, s15, 5, v9
	s_mov_b32 s13, exec_lo
	s_delay_alu instid0(VALU_DEP_3) | instskip(NEXT) | instid1(VALU_DEP_3)
	v_mov_b32_e32 v2, v6
	v_mov_b32_e32 v4, v7
	s_delay_alu instid0(VALU_DEP_3)
	v_cmpx_gt_u32_e64 s12, v5
	s_cbranch_execz .LBB90_4
; %bb.2:
	v_mad_u64_u32 v[6:7], null, v5, s2, 0
	s_delay_alu instid0(VALU_DEP_1) | instskip(NEXT) | instid1(VALU_DEP_1)
	v_mov_b32_e32 v0, v7
	v_mad_u64_u32 v[7:8], null, v5, s3, v[0:1]
	s_delay_alu instid0(VALU_DEP_1) | instskip(NEXT) | instid1(VALU_DEP_1)
	v_lshlrev_b64 v[6:7], 3, v[6:7]
	v_add_co_u32 v6, vcc_lo, s0, v6
	s_delay_alu instid0(VALU_DEP_2)
	v_add_co_ci_u32_e32 v7, vcc_lo, s1, v7, vcc_lo
	global_load_b64 v[7:8], v[6:7], off
	s_waitcnt vmcnt(0)
	v_cmp_neq_f64_e32 vcc_lo, 0, v[7:8]
	s_and_b32 exec_lo, exec_lo, vcc_lo
	s_cbranch_execz .LBB90_4
; %bb.3:
	v_mov_b32_e32 v6, 0
	v_lshlrev_b64 v[13:14], 3, v[3:4]
	v_lshlrev_b64 v[15:16], 3, v[1:2]
	s_lshl_b64 s[16:17], s[10:11], 3
	s_lshl_b64 s[14:15], s[6:7], 3
	v_lshlrev_b64 v[9:10], 3, v[5:6]
	s_delay_alu instid0(VALU_DEP_1) | instskip(NEXT) | instid1(VALU_DEP_2)
	v_add_co_u32 v11, vcc_lo, s8, v9
	v_add_co_ci_u32_e32 v12, vcc_lo, s9, v10, vcc_lo
	v_add_co_u32 v9, vcc_lo, s4, v9
	v_add_co_ci_u32_e32 v10, vcc_lo, s5, v10, vcc_lo
	global_load_b64 v[11:12], v[11:12], off
	global_load_b64 v[9:10], v[9:10], off
	s_waitcnt vmcnt(1)
	v_add_co_u32 v0, vcc_lo, v11, v13
	v_add_co_ci_u32_e32 v6, vcc_lo, v12, v14, vcc_lo
	s_waitcnt vmcnt(0)
	v_add_co_u32 v11, vcc_lo, v9, v15
	v_add_co_ci_u32_e32 v12, vcc_lo, v10, v16, vcc_lo
	v_add_co_u32 v9, vcc_lo, v0, s16
	v_add_co_ci_u32_e32 v10, vcc_lo, s17, v6, vcc_lo
	s_delay_alu instid0(VALU_DEP_4) | instskip(NEXT) | instid1(VALU_DEP_4)
	v_add_co_u32 v11, vcc_lo, v11, s14
	v_add_co_ci_u32_e32 v12, vcc_lo, s15, v12, vcc_lo
	global_load_b64 v[13:14], v[9:10], off
	global_load_b64 v[11:12], v[11:12], off
	s_waitcnt vmcnt(0)
	v_fma_f64 v[6:7], v[7:8], v[11:12], v[13:14]
	global_store_b64 v[9:10], v[6:7], off
.LBB90_4:
	s_or_b32 exec_lo, exec_lo, s13
	v_or_b32_e32 v0, 1, v5
	s_mov_b32 s13, exec_lo
	s_delay_alu instid0(VALU_DEP_1)
	v_cmpx_gt_u32_e64 s12, v0
	s_cbranch_execz .LBB90_7
; %bb.5:
	v_mad_u64_u32 v[6:7], null, v0, s2, 0
	s_delay_alu instid0(VALU_DEP_1) | instskip(NEXT) | instid1(VALU_DEP_1)
	v_mad_u64_u32 v[8:9], null, v0, s3, v[7:8]
	v_mov_b32_e32 v7, v8
	s_delay_alu instid0(VALU_DEP_1) | instskip(NEXT) | instid1(VALU_DEP_1)
	v_lshlrev_b64 v[6:7], 3, v[6:7]
	v_add_co_u32 v6, vcc_lo, s0, v6
	s_delay_alu instid0(VALU_DEP_2)
	v_add_co_ci_u32_e32 v7, vcc_lo, s1, v7, vcc_lo
	global_load_b64 v[7:8], v[6:7], off
	s_waitcnt vmcnt(0)
	v_cmp_neq_f64_e32 vcc_lo, 0, v[7:8]
	s_and_b32 exec_lo, exec_lo, vcc_lo
	s_cbranch_execz .LBB90_7
; %bb.6:
	v_mov_b32_e32 v6, 0
	v_lshlrev_b64 v[13:14], 3, v[3:4]
	v_lshlrev_b64 v[15:16], 3, v[1:2]
	s_lshl_b64 s[16:17], s[10:11], 3
	s_lshl_b64 s[14:15], s[6:7], 3
	v_lshlrev_b64 v[9:10], 3, v[5:6]
	s_delay_alu instid0(VALU_DEP_1) | instskip(NEXT) | instid1(VALU_DEP_2)
	v_add_co_u32 v11, vcc_lo, s8, v9
	v_add_co_ci_u32_e32 v12, vcc_lo, s9, v10, vcc_lo
	v_add_co_u32 v9, vcc_lo, s4, v9
	v_add_co_ci_u32_e32 v10, vcc_lo, s5, v10, vcc_lo
	global_load_b64 v[11:12], v[11:12], off offset:8
	global_load_b64 v[9:10], v[9:10], off offset:8
	s_waitcnt vmcnt(1)
	v_add_co_u32 v0, vcc_lo, v11, v13
	v_add_co_ci_u32_e32 v6, vcc_lo, v12, v14, vcc_lo
	s_waitcnt vmcnt(0)
	v_add_co_u32 v11, vcc_lo, v9, v15
	v_add_co_ci_u32_e32 v12, vcc_lo, v10, v16, vcc_lo
	v_add_co_u32 v9, vcc_lo, v0, s16
	v_add_co_ci_u32_e32 v10, vcc_lo, s17, v6, vcc_lo
	s_delay_alu instid0(VALU_DEP_4) | instskip(NEXT) | instid1(VALU_DEP_4)
	v_add_co_u32 v11, vcc_lo, v11, s14
	v_add_co_ci_u32_e32 v12, vcc_lo, s15, v12, vcc_lo
	global_load_b64 v[13:14], v[9:10], off
	global_load_b64 v[11:12], v[11:12], off
	s_waitcnt vmcnt(0)
	v_fma_f64 v[6:7], v[7:8], v[11:12], v[13:14]
	global_store_b64 v[9:10], v[6:7], off
.LBB90_7:
	s_or_b32 exec_lo, exec_lo, s13
	v_or_b32_e32 v0, 2, v5
	s_mov_b32 s13, exec_lo
	s_delay_alu instid0(VALU_DEP_1)
	v_cmpx_gt_u32_e64 s12, v0
	s_cbranch_execz .LBB90_10
; %bb.8:
	v_mad_u64_u32 v[6:7], null, v0, s2, 0
	s_delay_alu instid0(VALU_DEP_1) | instskip(NEXT) | instid1(VALU_DEP_1)
	v_mad_u64_u32 v[8:9], null, v0, s3, v[7:8]
	v_mov_b32_e32 v7, v8
	s_delay_alu instid0(VALU_DEP_1) | instskip(NEXT) | instid1(VALU_DEP_1)
	v_lshlrev_b64 v[6:7], 3, v[6:7]
	v_add_co_u32 v6, vcc_lo, s0, v6
	s_delay_alu instid0(VALU_DEP_2)
	v_add_co_ci_u32_e32 v7, vcc_lo, s1, v7, vcc_lo
	global_load_b64 v[7:8], v[6:7], off
	s_waitcnt vmcnt(0)
	v_cmp_neq_f64_e32 vcc_lo, 0, v[7:8]
	s_and_b32 exec_lo, exec_lo, vcc_lo
	s_cbranch_execz .LBB90_10
; %bb.9:
	v_mov_b32_e32 v6, 0
	v_lshlrev_b64 v[13:14], 3, v[3:4]
	v_lshlrev_b64 v[15:16], 3, v[1:2]
	s_lshl_b64 s[16:17], s[10:11], 3
	s_lshl_b64 s[14:15], s[6:7], 3
	v_lshlrev_b64 v[9:10], 3, v[5:6]
	s_delay_alu instid0(VALU_DEP_1) | instskip(NEXT) | instid1(VALU_DEP_2)
	v_add_co_u32 v11, vcc_lo, s8, v9
	v_add_co_ci_u32_e32 v12, vcc_lo, s9, v10, vcc_lo
	v_add_co_u32 v9, vcc_lo, s4, v9
	v_add_co_ci_u32_e32 v10, vcc_lo, s5, v10, vcc_lo
	global_load_b64 v[11:12], v[11:12], off offset:16
	global_load_b64 v[9:10], v[9:10], off offset:16
	s_waitcnt vmcnt(1)
	v_add_co_u32 v0, vcc_lo, v11, v13
	v_add_co_ci_u32_e32 v6, vcc_lo, v12, v14, vcc_lo
	s_waitcnt vmcnt(0)
	v_add_co_u32 v11, vcc_lo, v9, v15
	v_add_co_ci_u32_e32 v12, vcc_lo, v10, v16, vcc_lo
	v_add_co_u32 v9, vcc_lo, v0, s16
	v_add_co_ci_u32_e32 v10, vcc_lo, s17, v6, vcc_lo
	s_delay_alu instid0(VALU_DEP_4) | instskip(NEXT) | instid1(VALU_DEP_4)
	v_add_co_u32 v11, vcc_lo, v11, s14
	v_add_co_ci_u32_e32 v12, vcc_lo, s15, v12, vcc_lo
	global_load_b64 v[13:14], v[9:10], off
	global_load_b64 v[11:12], v[11:12], off
	s_waitcnt vmcnt(0)
	v_fma_f64 v[6:7], v[7:8], v[11:12], v[13:14]
	global_store_b64 v[9:10], v[6:7], off
.LBB90_10:
	s_or_b32 exec_lo, exec_lo, s13
	v_or_b32_e32 v0, 3, v5
	s_delay_alu instid0(VALU_DEP_1)
	v_cmp_gt_u32_e32 vcc_lo, s12, v0
	s_and_b32 exec_lo, exec_lo, vcc_lo
	s_cbranch_execz .LBB90_13
; %bb.11:
	v_mad_u64_u32 v[6:7], null, v0, s2, 0
	s_delay_alu instid0(VALU_DEP_1) | instskip(NEXT) | instid1(VALU_DEP_1)
	v_mad_u64_u32 v[8:9], null, v0, s3, v[7:8]
	v_mov_b32_e32 v7, v8
	s_delay_alu instid0(VALU_DEP_1) | instskip(NEXT) | instid1(VALU_DEP_1)
	v_lshlrev_b64 v[6:7], 3, v[6:7]
	v_add_co_u32 v6, vcc_lo, s0, v6
	s_delay_alu instid0(VALU_DEP_2)
	v_add_co_ci_u32_e32 v7, vcc_lo, s1, v7, vcc_lo
	global_load_b64 v[7:8], v[6:7], off
	s_waitcnt vmcnt(0)
	v_cmp_neq_f64_e32 vcc_lo, 0, v[7:8]
	s_and_b32 exec_lo, exec_lo, vcc_lo
	s_cbranch_execz .LBB90_13
; %bb.12:
	v_mov_b32_e32 v6, 0
	v_lshlrev_b64 v[3:4], 3, v[3:4]
	v_lshlrev_b64 v[0:1], 3, v[1:2]
	s_lshl_b64 s[2:3], s[10:11], 3
	s_lshl_b64 s[0:1], s[6:7], 3
	v_lshlrev_b64 v[5:6], 3, v[5:6]
	s_delay_alu instid0(VALU_DEP_1) | instskip(NEXT) | instid1(VALU_DEP_2)
	v_add_co_u32 v9, vcc_lo, s8, v5
	v_add_co_ci_u32_e32 v10, vcc_lo, s9, v6, vcc_lo
	v_add_co_u32 v5, vcc_lo, s4, v5
	v_add_co_ci_u32_e32 v6, vcc_lo, s5, v6, vcc_lo
	global_load_b64 v[9:10], v[9:10], off offset:24
	global_load_b64 v[5:6], v[5:6], off offset:24
	s_waitcnt vmcnt(1)
	v_add_co_u32 v2, vcc_lo, v9, v3
	v_add_co_ci_u32_e32 v3, vcc_lo, v10, v4, vcc_lo
	s_waitcnt vmcnt(0)
	v_add_co_u32 v4, vcc_lo, v5, v0
	v_add_co_ci_u32_e32 v5, vcc_lo, v6, v1, vcc_lo
	v_add_co_u32 v0, vcc_lo, v2, s2
	v_add_co_ci_u32_e32 v1, vcc_lo, s3, v3, vcc_lo
	s_delay_alu instid0(VALU_DEP_4) | instskip(NEXT) | instid1(VALU_DEP_4)
	v_add_co_u32 v2, vcc_lo, v4, s0
	v_add_co_ci_u32_e32 v3, vcc_lo, s1, v5, vcc_lo
	global_load_b64 v[4:5], v[0:1], off
	global_load_b64 v[2:3], v[2:3], off
	s_waitcnt vmcnt(0)
	v_fma_f64 v[2:3], v[7:8], v[2:3], v[4:5]
	global_store_b64 v[0:1], v[2:3], off
.LBB90_13:
	s_nop 0
	s_sendmsg sendmsg(MSG_DEALLOC_VGPRS)
	s_endpgm
	.section	.rodata,"a",@progbits
	.p2align	6, 0x0
	.amdhsa_kernel _ZL27rocblas_axpy_kernel_batchedIiLi128ELi8EdPKdPKS1_PKPdEviT3_lT4_lT_lT5_lS9_li
		.amdhsa_group_segment_fixed_size 0
		.amdhsa_private_segment_fixed_size 0
		.amdhsa_kernarg_size 92
		.amdhsa_user_sgpr_count 14
		.amdhsa_user_sgpr_dispatch_ptr 0
		.amdhsa_user_sgpr_queue_ptr 0
		.amdhsa_user_sgpr_kernarg_segment_ptr 1
		.amdhsa_user_sgpr_dispatch_id 0
		.amdhsa_user_sgpr_private_segment_size 0
		.amdhsa_wavefront_size32 1
		.amdhsa_uses_dynamic_stack 0
		.amdhsa_enable_private_segment 0
		.amdhsa_system_sgpr_workgroup_id_x 1
		.amdhsa_system_sgpr_workgroup_id_y 0
		.amdhsa_system_sgpr_workgroup_id_z 1
		.amdhsa_system_sgpr_workgroup_info 0
		.amdhsa_system_vgpr_workitem_id 1
		.amdhsa_next_free_vgpr 17
		.amdhsa_next_free_sgpr 18
		.amdhsa_reserve_vcc 1
		.amdhsa_float_round_mode_32 0
		.amdhsa_float_round_mode_16_64 0
		.amdhsa_float_denorm_mode_32 3
		.amdhsa_float_denorm_mode_16_64 3
		.amdhsa_dx10_clamp 1
		.amdhsa_ieee_mode 1
		.amdhsa_fp16_overflow 0
		.amdhsa_workgroup_processor_mode 1
		.amdhsa_memory_ordered 1
		.amdhsa_forward_progress 0
		.amdhsa_shared_vgpr_count 0
		.amdhsa_exception_fp_ieee_invalid_op 0
		.amdhsa_exception_fp_denorm_src 0
		.amdhsa_exception_fp_ieee_div_zero 0
		.amdhsa_exception_fp_ieee_overflow 0
		.amdhsa_exception_fp_ieee_underflow 0
		.amdhsa_exception_fp_ieee_inexact 0
		.amdhsa_exception_int_div_zero 0
	.end_amdhsa_kernel
	.section	.text._ZL27rocblas_axpy_kernel_batchedIiLi128ELi8EdPKdPKS1_PKPdEviT3_lT4_lT_lT5_lS9_li,"axG",@progbits,_ZL27rocblas_axpy_kernel_batchedIiLi128ELi8EdPKdPKS1_PKPdEviT3_lT4_lT_lT5_lS9_li,comdat
.Lfunc_end90:
	.size	_ZL27rocblas_axpy_kernel_batchedIiLi128ELi8EdPKdPKS1_PKPdEviT3_lT4_lT_lT5_lS9_li, .Lfunc_end90-_ZL27rocblas_axpy_kernel_batchedIiLi128ELi8EdPKdPKS1_PKPdEviT3_lT4_lT_lT5_lS9_li
                                        ; -- End function
	.section	.AMDGPU.csdata,"",@progbits
; Kernel info:
; codeLenInByte = 1312
; NumSgprs: 20
; NumVgprs: 17
; ScratchSize: 0
; MemoryBound: 0
; FloatMode: 240
; IeeeMode: 1
; LDSByteSize: 0 bytes/workgroup (compile time only)
; SGPRBlocks: 2
; VGPRBlocks: 2
; NumSGPRsForWavesPerEU: 20
; NumVGPRsForWavesPerEU: 17
; Occupancy: 16
; WaveLimiterHint : 1
; COMPUTE_PGM_RSRC2:SCRATCH_EN: 0
; COMPUTE_PGM_RSRC2:USER_SGPR: 14
; COMPUTE_PGM_RSRC2:TRAP_HANDLER: 0
; COMPUTE_PGM_RSRC2:TGID_X_EN: 1
; COMPUTE_PGM_RSRC2:TGID_Y_EN: 0
; COMPUTE_PGM_RSRC2:TGID_Z_EN: 1
; COMPUTE_PGM_RSRC2:TIDIG_COMP_CNT: 1
	.section	.text._ZL27rocblas_axpy_kernel_batchedIiLi128ELi8EddPKPKdPKPdEviT3_lT4_lT_lT5_lS9_li,"axG",@progbits,_ZL27rocblas_axpy_kernel_batchedIiLi128ELi8EddPKPKdPKPdEviT3_lT4_lT_lT5_lS9_li,comdat
	.globl	_ZL27rocblas_axpy_kernel_batchedIiLi128ELi8EddPKPKdPKPdEviT3_lT4_lT_lT5_lS9_li ; -- Begin function _ZL27rocblas_axpy_kernel_batchedIiLi128ELi8EddPKPKdPKPdEviT3_lT4_lT_lT5_lS9_li
	.p2align	8
	.type	_ZL27rocblas_axpy_kernel_batchedIiLi128ELi8EddPKPKdPKPdEviT3_lT4_lT_lT5_lS9_li,@function
_ZL27rocblas_axpy_kernel_batchedIiLi128ELi8EddPKPKdPKPdEviT3_lT4_lT_lT5_lS9_li: ; @_ZL27rocblas_axpy_kernel_batchedIiLi128ELi8EddPKPKdPKPdEviT3_lT4_lT_lT5_lS9_li
; %bb.0:
	s_load_b32 s2, s[0:1], 0x0
	v_dual_mov_b32 v2, 0 :: v_dual_and_b32 v1, 0x3ff, v0
	s_delay_alu instid0(VALU_DEP_1)
	v_lshl_add_u32 v1, s14, 7, v1
	s_waitcnt lgkmcnt(0)
	s_ashr_i32 s3, s2, 31
	s_delay_alu instid0(VALU_DEP_1) | instid1(SALU_CYCLE_1)
	v_cmp_gt_i64_e32 vcc_lo, s[2:3], v[1:2]
	s_and_saveexec_b32 s2, vcc_lo
	s_cbranch_execz .LBB91_9
; %bb.1:
	s_clause 0x5
	s_load_b64 s[2:3], s[0:1], 0x8
	s_load_b32 s13, s[0:1], 0x28
	s_load_b32 s14, s[0:1], 0x48
	s_load_b128 s[4:7], s[0:1], 0x18
	s_load_b128 s[8:11], s[0:1], 0x38
	s_load_b32 s0, s[0:1], 0x58
	v_bfe_u32 v0, v0, 10, 10
	s_waitcnt lgkmcnt(0)
	v_cmp_neq_f64_e64 s12, s[2:3], 0
	v_mad_u64_u32 v[2:3], null, s13, v1, 0
	v_mad_u64_u32 v[5:6], null, s14, v1, 0
	s_ashr_i32 s1, s13, 31
	s_ashr_i32 s13, s14, 31
	s_delay_alu instid0(VALU_DEP_1) | instskip(NEXT) | instid1(VALU_DEP_1)
	v_mov_b32_e32 v4, v6
	v_mad_u64_u32 v[6:7], null, s1, v1, v[3:4]
	s_delay_alu instid0(VALU_DEP_3) | instskip(NEXT) | instid1(VALU_DEP_2)
	v_mad_u64_u32 v[7:8], null, s13, v1, v[4:5]
	v_dual_mov_b32 v3, v6 :: v_dual_lshlrev_b32 v0, 2, v0
	s_delay_alu instid0(VALU_DEP_1) | instskip(NEXT) | instid1(VALU_DEP_3)
	v_lshl_add_u32 v4, s15, 5, v0
	v_mov_b32_e32 v6, v7
	s_delay_alu instid0(VALU_DEP_3) | instskip(NEXT) | instid1(VALU_DEP_3)
	v_lshlrev_b64 v[0:1], 3, v[2:3]
	v_cmp_gt_u32_e32 vcc_lo, s0, v4
	s_delay_alu instid0(VALU_DEP_3) | instskip(SKIP_1) | instid1(SALU_CYCLE_1)
	v_lshlrev_b64 v[2:3], 3, v[5:6]
	s_and_b32 s13, s12, vcc_lo
	s_and_saveexec_b32 s1, s13
	s_cbranch_execz .LBB91_3
; %bb.2:
	v_mov_b32_e32 v5, 0
	s_lshl_b64 s[16:17], s[10:11], 3
	s_lshl_b64 s[14:15], s[6:7], 3
	s_delay_alu instid0(VALU_DEP_1) | instskip(NEXT) | instid1(VALU_DEP_1)
	v_lshlrev_b64 v[5:6], 3, v[4:5]
	v_add_co_u32 v7, vcc_lo, s8, v5
	s_delay_alu instid0(VALU_DEP_2)
	v_add_co_ci_u32_e32 v8, vcc_lo, s9, v6, vcc_lo
	v_add_co_u32 v5, vcc_lo, s4, v5
	v_add_co_ci_u32_e32 v6, vcc_lo, s5, v6, vcc_lo
	global_load_b64 v[7:8], v[7:8], off
	global_load_b64 v[5:6], v[5:6], off
	s_waitcnt vmcnt(1)
	v_add_co_u32 v7, vcc_lo, v7, v2
	v_add_co_ci_u32_e32 v8, vcc_lo, v8, v3, vcc_lo
	s_waitcnt vmcnt(0)
	v_add_co_u32 v9, vcc_lo, v5, v0
	v_add_co_ci_u32_e32 v10, vcc_lo, v6, v1, vcc_lo
	v_add_co_u32 v5, vcc_lo, v7, s16
	v_add_co_ci_u32_e32 v6, vcc_lo, s17, v8, vcc_lo
	s_delay_alu instid0(VALU_DEP_4) | instskip(NEXT) | instid1(VALU_DEP_4)
	v_add_co_u32 v7, vcc_lo, v9, s14
	v_add_co_ci_u32_e32 v8, vcc_lo, s15, v10, vcc_lo
	global_load_b64 v[9:10], v[5:6], off
	global_load_b64 v[7:8], v[7:8], off
	s_waitcnt vmcnt(0)
	v_fma_f64 v[7:8], v[7:8], s[2:3], v[9:10]
	global_store_b64 v[5:6], v[7:8], off
.LBB91_3:
	s_or_b32 exec_lo, exec_lo, s1
	v_or_b32_e32 v5, 1, v4
	s_delay_alu instid0(VALU_DEP_1) | instskip(SKIP_1) | instid1(SALU_CYCLE_1)
	v_cmp_gt_u32_e32 vcc_lo, s0, v5
	s_and_b32 s13, s12, vcc_lo
	s_and_saveexec_b32 s1, s13
	s_cbranch_execz .LBB91_5
; %bb.4:
	v_mov_b32_e32 v5, 0
	s_lshl_b64 s[16:17], s[10:11], 3
	s_lshl_b64 s[14:15], s[6:7], 3
	s_delay_alu instid0(VALU_DEP_1) | instskip(NEXT) | instid1(VALU_DEP_1)
	v_lshlrev_b64 v[5:6], 3, v[4:5]
	v_add_co_u32 v7, vcc_lo, s8, v5
	s_delay_alu instid0(VALU_DEP_2)
	v_add_co_ci_u32_e32 v8, vcc_lo, s9, v6, vcc_lo
	v_add_co_u32 v5, vcc_lo, s4, v5
	v_add_co_ci_u32_e32 v6, vcc_lo, s5, v6, vcc_lo
	global_load_b64 v[7:8], v[7:8], off offset:8
	global_load_b64 v[5:6], v[5:6], off offset:8
	s_waitcnt vmcnt(1)
	v_add_co_u32 v7, vcc_lo, v7, v2
	v_add_co_ci_u32_e32 v8, vcc_lo, v8, v3, vcc_lo
	s_waitcnt vmcnt(0)
	v_add_co_u32 v9, vcc_lo, v5, v0
	v_add_co_ci_u32_e32 v10, vcc_lo, v6, v1, vcc_lo
	v_add_co_u32 v5, vcc_lo, v7, s16
	v_add_co_ci_u32_e32 v6, vcc_lo, s17, v8, vcc_lo
	s_delay_alu instid0(VALU_DEP_4) | instskip(NEXT) | instid1(VALU_DEP_4)
	v_add_co_u32 v7, vcc_lo, v9, s14
	v_add_co_ci_u32_e32 v8, vcc_lo, s15, v10, vcc_lo
	global_load_b64 v[9:10], v[5:6], off
	global_load_b64 v[7:8], v[7:8], off
	s_waitcnt vmcnt(0)
	v_fma_f64 v[7:8], v[7:8], s[2:3], v[9:10]
	global_store_b64 v[5:6], v[7:8], off
.LBB91_5:
	s_or_b32 exec_lo, exec_lo, s1
	v_or_b32_e32 v5, 2, v4
	s_delay_alu instid0(VALU_DEP_1) | instskip(SKIP_1) | instid1(SALU_CYCLE_1)
	v_cmp_gt_u32_e32 vcc_lo, s0, v5
	s_and_b32 s13, s12, vcc_lo
	s_and_saveexec_b32 s1, s13
	s_cbranch_execz .LBB91_7
; %bb.6:
	v_mov_b32_e32 v5, 0
	s_lshl_b64 s[16:17], s[10:11], 3
	s_lshl_b64 s[14:15], s[6:7], 3
	s_delay_alu instid0(VALU_DEP_1) | instskip(NEXT) | instid1(VALU_DEP_1)
	v_lshlrev_b64 v[5:6], 3, v[4:5]
	v_add_co_u32 v7, vcc_lo, s8, v5
	s_delay_alu instid0(VALU_DEP_2)
	v_add_co_ci_u32_e32 v8, vcc_lo, s9, v6, vcc_lo
	v_add_co_u32 v5, vcc_lo, s4, v5
	v_add_co_ci_u32_e32 v6, vcc_lo, s5, v6, vcc_lo
	global_load_b64 v[7:8], v[7:8], off offset:16
	global_load_b64 v[5:6], v[5:6], off offset:16
	s_waitcnt vmcnt(1)
	v_add_co_u32 v7, vcc_lo, v7, v2
	v_add_co_ci_u32_e32 v8, vcc_lo, v8, v3, vcc_lo
	s_waitcnt vmcnt(0)
	v_add_co_u32 v9, vcc_lo, v5, v0
	v_add_co_ci_u32_e32 v10, vcc_lo, v6, v1, vcc_lo
	v_add_co_u32 v5, vcc_lo, v7, s16
	v_add_co_ci_u32_e32 v6, vcc_lo, s17, v8, vcc_lo
	s_delay_alu instid0(VALU_DEP_4) | instskip(NEXT) | instid1(VALU_DEP_4)
	v_add_co_u32 v7, vcc_lo, v9, s14
	v_add_co_ci_u32_e32 v8, vcc_lo, s15, v10, vcc_lo
	global_load_b64 v[9:10], v[5:6], off
	global_load_b64 v[7:8], v[7:8], off
	s_waitcnt vmcnt(0)
	v_fma_f64 v[7:8], v[7:8], s[2:3], v[9:10]
	global_store_b64 v[5:6], v[7:8], off
.LBB91_7:
	s_or_b32 exec_lo, exec_lo, s1
	v_or_b32_e32 v5, 3, v4
	s_delay_alu instid0(VALU_DEP_1) | instskip(SKIP_1) | instid1(SALU_CYCLE_1)
	v_cmp_gt_u32_e32 vcc_lo, s0, v5
	s_and_b32 s0, s12, vcc_lo
	s_and_b32 exec_lo, exec_lo, s0
	s_cbranch_execz .LBB91_9
; %bb.8:
	v_mov_b32_e32 v5, 0
	s_lshl_b64 s[0:1], s[6:7], 3
	s_delay_alu instid0(VALU_DEP_1) | instskip(NEXT) | instid1(VALU_DEP_1)
	v_lshlrev_b64 v[4:5], 3, v[4:5]
	v_add_co_u32 v6, vcc_lo, s8, v4
	s_delay_alu instid0(VALU_DEP_2)
	v_add_co_ci_u32_e32 v7, vcc_lo, s9, v5, vcc_lo
	v_add_co_u32 v4, vcc_lo, s4, v4
	v_add_co_ci_u32_e32 v5, vcc_lo, s5, v5, vcc_lo
	s_lshl_b64 s[4:5], s[10:11], 3
	global_load_b64 v[6:7], v[6:7], off offset:24
	global_load_b64 v[4:5], v[4:5], off offset:24
	s_waitcnt vmcnt(1)
	v_add_co_u32 v2, vcc_lo, v6, v2
	v_add_co_ci_u32_e32 v3, vcc_lo, v7, v3, vcc_lo
	s_waitcnt vmcnt(0)
	v_add_co_u32 v4, vcc_lo, v4, v0
	v_add_co_ci_u32_e32 v5, vcc_lo, v5, v1, vcc_lo
	v_add_co_u32 v0, vcc_lo, v2, s4
	v_add_co_ci_u32_e32 v1, vcc_lo, s5, v3, vcc_lo
	s_delay_alu instid0(VALU_DEP_4) | instskip(NEXT) | instid1(VALU_DEP_4)
	v_add_co_u32 v2, vcc_lo, v4, s0
	v_add_co_ci_u32_e32 v3, vcc_lo, s1, v5, vcc_lo
	global_load_b64 v[4:5], v[0:1], off
	global_load_b64 v[2:3], v[2:3], off
	s_waitcnt vmcnt(0)
	v_fma_f64 v[2:3], v[2:3], s[2:3], v[4:5]
	global_store_b64 v[0:1], v[2:3], off
.LBB91_9:
	s_nop 0
	s_sendmsg sendmsg(MSG_DEALLOC_VGPRS)
	s_endpgm
	.section	.rodata,"a",@progbits
	.p2align	6, 0x0
	.amdhsa_kernel _ZL27rocblas_axpy_kernel_batchedIiLi128ELi8EddPKPKdPKPdEviT3_lT4_lT_lT5_lS9_li
		.amdhsa_group_segment_fixed_size 0
		.amdhsa_private_segment_fixed_size 0
		.amdhsa_kernarg_size 92
		.amdhsa_user_sgpr_count 14
		.amdhsa_user_sgpr_dispatch_ptr 0
		.amdhsa_user_sgpr_queue_ptr 0
		.amdhsa_user_sgpr_kernarg_segment_ptr 1
		.amdhsa_user_sgpr_dispatch_id 0
		.amdhsa_user_sgpr_private_segment_size 0
		.amdhsa_wavefront_size32 1
		.amdhsa_uses_dynamic_stack 0
		.amdhsa_enable_private_segment 0
		.amdhsa_system_sgpr_workgroup_id_x 1
		.amdhsa_system_sgpr_workgroup_id_y 0
		.amdhsa_system_sgpr_workgroup_id_z 1
		.amdhsa_system_sgpr_workgroup_info 0
		.amdhsa_system_vgpr_workitem_id 1
		.amdhsa_next_free_vgpr 11
		.amdhsa_next_free_sgpr 18
		.amdhsa_reserve_vcc 1
		.amdhsa_float_round_mode_32 0
		.amdhsa_float_round_mode_16_64 0
		.amdhsa_float_denorm_mode_32 3
		.amdhsa_float_denorm_mode_16_64 3
		.amdhsa_dx10_clamp 1
		.amdhsa_ieee_mode 1
		.amdhsa_fp16_overflow 0
		.amdhsa_workgroup_processor_mode 1
		.amdhsa_memory_ordered 1
		.amdhsa_forward_progress 0
		.amdhsa_shared_vgpr_count 0
		.amdhsa_exception_fp_ieee_invalid_op 0
		.amdhsa_exception_fp_denorm_src 0
		.amdhsa_exception_fp_ieee_div_zero 0
		.amdhsa_exception_fp_ieee_overflow 0
		.amdhsa_exception_fp_ieee_underflow 0
		.amdhsa_exception_fp_ieee_inexact 0
		.amdhsa_exception_int_div_zero 0
	.end_amdhsa_kernel
	.section	.text._ZL27rocblas_axpy_kernel_batchedIiLi128ELi8EddPKPKdPKPdEviT3_lT4_lT_lT5_lS9_li,"axG",@progbits,_ZL27rocblas_axpy_kernel_batchedIiLi128ELi8EddPKPKdPKPdEviT3_lT4_lT_lT5_lS9_li,comdat
.Lfunc_end91:
	.size	_ZL27rocblas_axpy_kernel_batchedIiLi128ELi8EddPKPKdPKPdEviT3_lT4_lT_lT5_lS9_li, .Lfunc_end91-_ZL27rocblas_axpy_kernel_batchedIiLi128ELi8EddPKPKdPKPdEviT3_lT4_lT_lT5_lS9_li
                                        ; -- End function
	.section	.AMDGPU.csdata,"",@progbits
; Kernel info:
; codeLenInByte = 996
; NumSgprs: 20
; NumVgprs: 11
; ScratchSize: 0
; MemoryBound: 0
; FloatMode: 240
; IeeeMode: 1
; LDSByteSize: 0 bytes/workgroup (compile time only)
; SGPRBlocks: 2
; VGPRBlocks: 1
; NumSGPRsForWavesPerEU: 20
; NumVGPRsForWavesPerEU: 11
; Occupancy: 16
; WaveLimiterHint : 1
; COMPUTE_PGM_RSRC2:SCRATCH_EN: 0
; COMPUTE_PGM_RSRC2:USER_SGPR: 14
; COMPUTE_PGM_RSRC2:TRAP_HANDLER: 0
; COMPUTE_PGM_RSRC2:TGID_X_EN: 1
; COMPUTE_PGM_RSRC2:TGID_Y_EN: 0
; COMPUTE_PGM_RSRC2:TGID_Z_EN: 1
; COMPUTE_PGM_RSRC2:TIDIG_COMP_CNT: 1
	.section	.text._ZL19rocblas_axpy_kernelIiLi256EdPKdPKS1_PKPdEviT2_lT3_lT_lT4_lS9_li,"axG",@progbits,_ZL19rocblas_axpy_kernelIiLi256EdPKdPKS1_PKPdEviT2_lT3_lT_lT4_lS9_li,comdat
	.globl	_ZL19rocblas_axpy_kernelIiLi256EdPKdPKS1_PKPdEviT2_lT3_lT_lT4_lS9_li ; -- Begin function _ZL19rocblas_axpy_kernelIiLi256EdPKdPKS1_PKPdEviT2_lT3_lT_lT4_lS9_li
	.p2align	8
	.type	_ZL19rocblas_axpy_kernelIiLi256EdPKdPKS1_PKPdEviT2_lT3_lT_lT4_lS9_li,@function
_ZL19rocblas_axpy_kernelIiLi256EdPKdPKS1_PKPdEviT2_lT3_lT_lT4_lS9_li: ; @_ZL19rocblas_axpy_kernelIiLi256EdPKdPKS1_PKPdEviT2_lT3_lT_lT4_lS9_li
; %bb.0:
	s_clause 0x1
	s_load_b128 s[8:11], s[0:1], 0x8
	s_load_b32 s6, s[0:1], 0x0
	v_lshl_or_b32 v0, s14, 8, v0
	v_mov_b32_e32 v1, 0
	s_mov_b32 s5, 0
	s_waitcnt lgkmcnt(0)
	s_mul_i32 s2, s15, s11
	s_mul_hi_u32 s3, s15, s10
	s_ashr_i32 s7, s6, 31
	s_add_i32 s3, s3, s2
	s_mul_i32 s2, s15, s10
	v_cmp_gt_i64_e32 vcc_lo, s[6:7], v[0:1]
	s_lshl_b64 s[2:3], s[2:3], 3
	s_delay_alu instid0(SALU_CYCLE_1) | instskip(SKIP_4) | instid1(VALU_DEP_1)
	s_add_u32 s2, s8, s2
	s_addc_u32 s3, s9, s3
	s_load_b64 s[2:3], s[2:3], 0x0
	s_waitcnt lgkmcnt(0)
	v_cmp_neq_f64_e64 s8, s[2:3], 0
	s_and_b32 s6, vcc_lo, s8
	s_delay_alu instid0(SALU_CYCLE_1)
	s_and_saveexec_b32 s7, s6
	s_cbranch_execz .LBB92_2
; %bb.1:
	s_mov_b32 s4, s15
	s_clause 0x2
	s_load_b32 s14, s[0:1], 0x28
	s_load_b32 s15, s[0:1], 0x48
	s_load_b128 s[8:11], s[0:1], 0x18
	s_lshl_b64 s[12:13], s[4:5], 3
	s_waitcnt lgkmcnt(0)
	s_ashr_i32 s16, s14, 31
	s_ashr_i32 s17, s15, 31
	s_add_u32 s4, s8, s12
	s_addc_u32 s5, s9, s13
	s_load_b64 s[8:9], s[4:5], 0x0
	s_load_b128 s[4:7], s[0:1], 0x38
	v_mad_u64_u32 v[1:2], null, s15, v0, 0
	v_mad_u64_u32 v[3:4], null, s14, v0, 0
	s_lshl_b64 s[0:1], s[10:11], 3
	s_delay_alu instid0(VALU_DEP_1) | instskip(NEXT) | instid1(VALU_DEP_1)
	v_mad_u64_u32 v[5:6], null, s17, v0, v[2:3]
	v_mad_u64_u32 v[6:7], null, s16, v0, v[4:5]
	s_waitcnt lgkmcnt(0)
	s_add_u32 s8, s0, s8
	s_addc_u32 s9, s1, s9
	s_add_u32 s0, s4, s12
	s_addc_u32 s1, s5, s13
	v_mov_b32_e32 v2, v5
	s_load_b64 s[0:1], s[0:1], 0x0
	v_mov_b32_e32 v4, v6
	s_lshl_b64 s[4:5], s[6:7], 3
	s_delay_alu instid0(VALU_DEP_2) | instskip(NEXT) | instid1(VALU_DEP_2)
	v_lshlrev_b64 v[0:1], 3, v[1:2]
	v_lshlrev_b64 v[2:3], 3, v[3:4]
	s_waitcnt lgkmcnt(0)
	s_add_u32 s0, s4, s0
	s_addc_u32 s1, s5, s1
	s_delay_alu instid0(VALU_DEP_2)
	v_add_co_u32 v0, vcc_lo, s0, v0
	v_add_co_ci_u32_e32 v1, vcc_lo, s1, v1, vcc_lo
	v_add_co_u32 v2, vcc_lo, s8, v2
	v_add_co_ci_u32_e32 v3, vcc_lo, s9, v3, vcc_lo
	global_load_b64 v[4:5], v[0:1], off
	global_load_b64 v[2:3], v[2:3], off
	s_waitcnt vmcnt(0)
	v_fma_f64 v[2:3], s[2:3], v[2:3], v[4:5]
	global_store_b64 v[0:1], v[2:3], off
.LBB92_2:
	s_nop 0
	s_sendmsg sendmsg(MSG_DEALLOC_VGPRS)
	s_endpgm
	.section	.rodata,"a",@progbits
	.p2align	6, 0x0
	.amdhsa_kernel _ZL19rocblas_axpy_kernelIiLi256EdPKdPKS1_PKPdEviT2_lT3_lT_lT4_lS9_li
		.amdhsa_group_segment_fixed_size 0
		.amdhsa_private_segment_fixed_size 0
		.amdhsa_kernarg_size 92
		.amdhsa_user_sgpr_count 14
		.amdhsa_user_sgpr_dispatch_ptr 0
		.amdhsa_user_sgpr_queue_ptr 0
		.amdhsa_user_sgpr_kernarg_segment_ptr 1
		.amdhsa_user_sgpr_dispatch_id 0
		.amdhsa_user_sgpr_private_segment_size 0
		.amdhsa_wavefront_size32 1
		.amdhsa_uses_dynamic_stack 0
		.amdhsa_enable_private_segment 0
		.amdhsa_system_sgpr_workgroup_id_x 1
		.amdhsa_system_sgpr_workgroup_id_y 0
		.amdhsa_system_sgpr_workgroup_id_z 1
		.amdhsa_system_sgpr_workgroup_info 0
		.amdhsa_system_vgpr_workitem_id 0
		.amdhsa_next_free_vgpr 8
		.amdhsa_next_free_sgpr 18
		.amdhsa_reserve_vcc 1
		.amdhsa_float_round_mode_32 0
		.amdhsa_float_round_mode_16_64 0
		.amdhsa_float_denorm_mode_32 3
		.amdhsa_float_denorm_mode_16_64 3
		.amdhsa_dx10_clamp 1
		.amdhsa_ieee_mode 1
		.amdhsa_fp16_overflow 0
		.amdhsa_workgroup_processor_mode 1
		.amdhsa_memory_ordered 1
		.amdhsa_forward_progress 0
		.amdhsa_shared_vgpr_count 0
		.amdhsa_exception_fp_ieee_invalid_op 0
		.amdhsa_exception_fp_denorm_src 0
		.amdhsa_exception_fp_ieee_div_zero 0
		.amdhsa_exception_fp_ieee_overflow 0
		.amdhsa_exception_fp_ieee_underflow 0
		.amdhsa_exception_fp_ieee_inexact 0
		.amdhsa_exception_int_div_zero 0
	.end_amdhsa_kernel
	.section	.text._ZL19rocblas_axpy_kernelIiLi256EdPKdPKS1_PKPdEviT2_lT3_lT_lT4_lS9_li,"axG",@progbits,_ZL19rocblas_axpy_kernelIiLi256EdPKdPKS1_PKPdEviT2_lT3_lT_lT4_lS9_li,comdat
.Lfunc_end92:
	.size	_ZL19rocblas_axpy_kernelIiLi256EdPKdPKS1_PKPdEviT2_lT3_lT_lT4_lS9_li, .Lfunc_end92-_ZL19rocblas_axpy_kernelIiLi256EdPKdPKS1_PKPdEviT2_lT3_lT_lT4_lS9_li
                                        ; -- End function
	.section	.AMDGPU.csdata,"",@progbits
; Kernel info:
; codeLenInByte = 376
; NumSgprs: 20
; NumVgprs: 8
; ScratchSize: 0
; MemoryBound: 0
; FloatMode: 240
; IeeeMode: 1
; LDSByteSize: 0 bytes/workgroup (compile time only)
; SGPRBlocks: 2
; VGPRBlocks: 0
; NumSGPRsForWavesPerEU: 20
; NumVGPRsForWavesPerEU: 8
; Occupancy: 16
; WaveLimiterHint : 1
; COMPUTE_PGM_RSRC2:SCRATCH_EN: 0
; COMPUTE_PGM_RSRC2:USER_SGPR: 14
; COMPUTE_PGM_RSRC2:TRAP_HANDLER: 0
; COMPUTE_PGM_RSRC2:TGID_X_EN: 1
; COMPUTE_PGM_RSRC2:TGID_Y_EN: 0
; COMPUTE_PGM_RSRC2:TGID_Z_EN: 1
; COMPUTE_PGM_RSRC2:TIDIG_COMP_CNT: 0
	.section	.text._ZL19rocblas_axpy_kernelIiLi256EddPKPKdPKPdEviT2_lT3_lT_lT4_lS9_li,"axG",@progbits,_ZL19rocblas_axpy_kernelIiLi256EddPKPKdPKPdEviT2_lT3_lT_lT4_lS9_li,comdat
	.globl	_ZL19rocblas_axpy_kernelIiLi256EddPKPKdPKPdEviT2_lT3_lT_lT4_lS9_li ; -- Begin function _ZL19rocblas_axpy_kernelIiLi256EddPKPKdPKPdEviT2_lT3_lT_lT4_lS9_li
	.p2align	8
	.type	_ZL19rocblas_axpy_kernelIiLi256EddPKPKdPKPdEviT2_lT3_lT_lT4_lS9_li,@function
_ZL19rocblas_axpy_kernelIiLi256EddPKPKdPKPdEviT2_lT3_lT_lT4_lS9_li: ; @_ZL19rocblas_axpy_kernelIiLi256EddPKPKdPKPdEviT2_lT3_lT_lT4_lS9_li
; %bb.0:
	s_clause 0x1
	s_load_b64 s[2:3], s[0:1], 0x8
	s_load_b32 s6, s[0:1], 0x0
	v_lshl_or_b32 v0, s14, 8, v0
	v_mov_b32_e32 v1, 0
	s_waitcnt lgkmcnt(0)
	v_cmp_neq_f64_e64 s5, s[2:3], 0
	s_ashr_i32 s7, s6, 31
	s_delay_alu instid0(VALU_DEP_2) | instid1(SALU_CYCLE_1)
	v_cmp_gt_i64_e32 vcc_lo, s[6:7], v[0:1]
	s_delay_alu instid0(VALU_DEP_2) | instskip(NEXT) | instid1(SALU_CYCLE_1)
	s_and_b32 s5, s5, vcc_lo
	s_and_saveexec_b32 s6, s5
	s_cbranch_execz .LBB93_2
; %bb.1:
	s_mov_b32 s4, s15
	s_clause 0x2
	s_load_b32 s14, s[0:1], 0x28
	s_load_b32 s15, s[0:1], 0x48
	s_load_b128 s[8:11], s[0:1], 0x18
	s_mov_b32 s5, 0
	s_delay_alu instid0(SALU_CYCLE_1)
	s_lshl_b64 s[12:13], s[4:5], 3
	s_waitcnt lgkmcnt(0)
	s_ashr_i32 s16, s14, 31
	s_ashr_i32 s17, s15, 31
	s_add_u32 s4, s8, s12
	s_addc_u32 s5, s9, s13
	s_load_b64 s[8:9], s[4:5], 0x0
	s_load_b128 s[4:7], s[0:1], 0x38
	v_mad_u64_u32 v[1:2], null, s15, v0, 0
	v_mad_u64_u32 v[3:4], null, s14, v0, 0
	s_lshl_b64 s[0:1], s[10:11], 3
	s_delay_alu instid0(VALU_DEP_1) | instskip(NEXT) | instid1(VALU_DEP_1)
	v_mad_u64_u32 v[5:6], null, s17, v0, v[2:3]
	v_mad_u64_u32 v[6:7], null, s16, v0, v[4:5]
	s_waitcnt lgkmcnt(0)
	s_add_u32 s8, s0, s8
	s_addc_u32 s9, s1, s9
	s_add_u32 s0, s4, s12
	s_addc_u32 s1, s5, s13
	v_mov_b32_e32 v2, v5
	s_load_b64 s[0:1], s[0:1], 0x0
	v_mov_b32_e32 v4, v6
	s_lshl_b64 s[4:5], s[6:7], 3
	s_delay_alu instid0(VALU_DEP_2) | instskip(NEXT) | instid1(VALU_DEP_2)
	v_lshlrev_b64 v[0:1], 3, v[1:2]
	v_lshlrev_b64 v[2:3], 3, v[3:4]
	s_waitcnt lgkmcnt(0)
	s_add_u32 s0, s4, s0
	s_addc_u32 s1, s5, s1
	s_delay_alu instid0(VALU_DEP_2)
	v_add_co_u32 v0, vcc_lo, s0, v0
	v_add_co_ci_u32_e32 v1, vcc_lo, s1, v1, vcc_lo
	v_add_co_u32 v2, vcc_lo, s8, v2
	v_add_co_ci_u32_e32 v3, vcc_lo, s9, v3, vcc_lo
	global_load_b64 v[4:5], v[0:1], off
	global_load_b64 v[2:3], v[2:3], off
	s_waitcnt vmcnt(0)
	v_fma_f64 v[2:3], v[2:3], s[2:3], v[4:5]
	global_store_b64 v[0:1], v[2:3], off
.LBB93_2:
	s_nop 0
	s_sendmsg sendmsg(MSG_DEALLOC_VGPRS)
	s_endpgm
	.section	.rodata,"a",@progbits
	.p2align	6, 0x0
	.amdhsa_kernel _ZL19rocblas_axpy_kernelIiLi256EddPKPKdPKPdEviT2_lT3_lT_lT4_lS9_li
		.amdhsa_group_segment_fixed_size 0
		.amdhsa_private_segment_fixed_size 0
		.amdhsa_kernarg_size 92
		.amdhsa_user_sgpr_count 14
		.amdhsa_user_sgpr_dispatch_ptr 0
		.amdhsa_user_sgpr_queue_ptr 0
		.amdhsa_user_sgpr_kernarg_segment_ptr 1
		.amdhsa_user_sgpr_dispatch_id 0
		.amdhsa_user_sgpr_private_segment_size 0
		.amdhsa_wavefront_size32 1
		.amdhsa_uses_dynamic_stack 0
		.amdhsa_enable_private_segment 0
		.amdhsa_system_sgpr_workgroup_id_x 1
		.amdhsa_system_sgpr_workgroup_id_y 0
		.amdhsa_system_sgpr_workgroup_id_z 1
		.amdhsa_system_sgpr_workgroup_info 0
		.amdhsa_system_vgpr_workitem_id 0
		.amdhsa_next_free_vgpr 8
		.amdhsa_next_free_sgpr 18
		.amdhsa_reserve_vcc 1
		.amdhsa_float_round_mode_32 0
		.amdhsa_float_round_mode_16_64 0
		.amdhsa_float_denorm_mode_32 3
		.amdhsa_float_denorm_mode_16_64 3
		.amdhsa_dx10_clamp 1
		.amdhsa_ieee_mode 1
		.amdhsa_fp16_overflow 0
		.amdhsa_workgroup_processor_mode 1
		.amdhsa_memory_ordered 1
		.amdhsa_forward_progress 0
		.amdhsa_shared_vgpr_count 0
		.amdhsa_exception_fp_ieee_invalid_op 0
		.amdhsa_exception_fp_denorm_src 0
		.amdhsa_exception_fp_ieee_div_zero 0
		.amdhsa_exception_fp_ieee_overflow 0
		.amdhsa_exception_fp_ieee_underflow 0
		.amdhsa_exception_fp_ieee_inexact 0
		.amdhsa_exception_int_div_zero 0
	.end_amdhsa_kernel
	.section	.text._ZL19rocblas_axpy_kernelIiLi256EddPKPKdPKPdEviT2_lT3_lT_lT4_lS9_li,"axG",@progbits,_ZL19rocblas_axpy_kernelIiLi256EddPKPKdPKPdEviT2_lT3_lT_lT4_lS9_li,comdat
.Lfunc_end93:
	.size	_ZL19rocblas_axpy_kernelIiLi256EddPKPKdPKPdEviT2_lT3_lT_lT4_lS9_li, .Lfunc_end93-_ZL19rocblas_axpy_kernelIiLi256EddPKPKdPKPdEviT2_lT3_lT_lT4_lS9_li
                                        ; -- End function
	.section	.AMDGPU.csdata,"",@progbits
; Kernel info:
; codeLenInByte = 340
; NumSgprs: 20
; NumVgprs: 8
; ScratchSize: 0
; MemoryBound: 0
; FloatMode: 240
; IeeeMode: 1
; LDSByteSize: 0 bytes/workgroup (compile time only)
; SGPRBlocks: 2
; VGPRBlocks: 0
; NumSGPRsForWavesPerEU: 20
; NumVGPRsForWavesPerEU: 8
; Occupancy: 16
; WaveLimiterHint : 1
; COMPUTE_PGM_RSRC2:SCRATCH_EN: 0
; COMPUTE_PGM_RSRC2:USER_SGPR: 14
; COMPUTE_PGM_RSRC2:TRAP_HANDLER: 0
; COMPUTE_PGM_RSRC2:TGID_X_EN: 1
; COMPUTE_PGM_RSRC2:TGID_Y_EN: 0
; COMPUTE_PGM_RSRC2:TGID_Z_EN: 1
; COMPUTE_PGM_RSRC2:TIDIG_COMP_CNT: 0
	.section	.text._ZL19rocblas_axpy_kernelIlLi256EdPKdPKS1_PKPdEviT2_lT3_lT_lT4_lS9_li,"axG",@progbits,_ZL19rocblas_axpy_kernelIlLi256EdPKdPKS1_PKPdEviT2_lT3_lT_lT4_lS9_li,comdat
	.globl	_ZL19rocblas_axpy_kernelIlLi256EdPKdPKS1_PKPdEviT2_lT3_lT_lT4_lS9_li ; -- Begin function _ZL19rocblas_axpy_kernelIlLi256EdPKdPKS1_PKPdEviT2_lT3_lT_lT4_lS9_li
	.p2align	8
	.type	_ZL19rocblas_axpy_kernelIlLi256EdPKdPKS1_PKPdEviT2_lT3_lT_lT4_lS9_li,@function
_ZL19rocblas_axpy_kernelIlLi256EdPKdPKS1_PKPdEviT2_lT3_lT_lT4_lS9_li: ; @_ZL19rocblas_axpy_kernelIlLi256EdPKdPKS1_PKPdEviT2_lT3_lT_lT4_lS9_li
; %bb.0:
	s_clause 0x1
	s_load_b128 s[4:7], s[0:1], 0x8
	s_load_b32 s10, s[0:1], 0x0
	v_lshl_or_b32 v0, s14, 8, v0
	v_mov_b32_e32 v1, 0
	s_mov_b32 s9, 0
	s_waitcnt lgkmcnt(0)
	s_mul_i32 s2, s15, s7
	s_mul_hi_u32 s3, s15, s6
	s_ashr_i32 s11, s10, 31
	s_add_i32 s3, s3, s2
	s_mul_i32 s2, s15, s6
	v_cmp_gt_i64_e32 vcc_lo, s[10:11], v[0:1]
	s_lshl_b64 s[2:3], s[2:3], 3
	s_delay_alu instid0(SALU_CYCLE_1) | instskip(SKIP_4) | instid1(VALU_DEP_1)
	s_add_u32 s2, s4, s2
	s_addc_u32 s3, s5, s3
	s_load_b64 s[2:3], s[2:3], 0x0
	s_waitcnt lgkmcnt(0)
	v_cmp_neq_f64_e64 s4, s[2:3], 0
	s_and_b32 s4, vcc_lo, s4
	s_delay_alu instid0(SALU_CYCLE_1)
	s_and_saveexec_b32 s5, s4
	s_cbranch_execz .LBB94_2
; %bb.1:
	s_clause 0x1
	s_load_b64 s[12:13], s[0:1], 0x18
	s_load_b128 s[4:7], s[0:1], 0x40
	s_mov_b32 s8, s15
	s_delay_alu instid0(SALU_CYCLE_1)
	s_lshl_b64 s[14:15], s[8:9], 3
	s_load_b128 s[8:11], s[0:1], 0x20
	s_waitcnt lgkmcnt(0)
	s_add_u32 s12, s12, s14
	s_addc_u32 s13, s13, s15
	v_mad_u64_u32 v[1:2], null, v0, s6, 0
	s_load_b64 s[12:13], s[12:13], 0x0
	s_load_b64 s[0:1], s[0:1], 0x38
	v_mad_u64_u32 v[3:4], null, v0, s10, 0
	s_lshl_b64 s[8:9], s[8:9], 3
	s_delay_alu instid0(VALU_DEP_1) | instskip(NEXT) | instid1(VALU_DEP_1)
	v_mad_u64_u32 v[5:6], null, v0, s7, v[2:3]
	v_mad_u64_u32 v[6:7], null, v0, s11, v[4:5]
	s_waitcnt lgkmcnt(0)
	s_add_u32 s6, s8, s12
	s_addc_u32 s8, s9, s13
	s_add_u32 s0, s0, s14
	s_addc_u32 s1, s1, s15
	v_mov_b32_e32 v2, v5
	s_load_b64 s[0:1], s[0:1], 0x0
	v_mov_b32_e32 v4, v6
	s_lshl_b64 s[4:5], s[4:5], 3
	s_delay_alu instid0(VALU_DEP_2) | instskip(NEXT) | instid1(VALU_DEP_2)
	v_lshlrev_b64 v[0:1], 3, v[1:2]
	v_lshlrev_b64 v[2:3], 3, v[3:4]
	s_waitcnt lgkmcnt(0)
	s_add_u32 s0, s4, s0
	s_addc_u32 s1, s5, s1
	s_delay_alu instid0(VALU_DEP_2)
	v_add_co_u32 v0, vcc_lo, s0, v0
	v_add_co_ci_u32_e32 v1, vcc_lo, s1, v1, vcc_lo
	v_add_co_u32 v2, vcc_lo, s6, v2
	v_add_co_ci_u32_e32 v3, vcc_lo, s8, v3, vcc_lo
	global_load_b64 v[4:5], v[0:1], off
	global_load_b64 v[2:3], v[2:3], off
	s_waitcnt vmcnt(0)
	v_fma_f64 v[2:3], s[2:3], v[2:3], v[4:5]
	global_store_b64 v[0:1], v[2:3], off
.LBB94_2:
	s_nop 0
	s_sendmsg sendmsg(MSG_DEALLOC_VGPRS)
	s_endpgm
	.section	.rodata,"a",@progbits
	.p2align	6, 0x0
	.amdhsa_kernel _ZL19rocblas_axpy_kernelIlLi256EdPKdPKS1_PKPdEviT2_lT3_lT_lT4_lS9_li
		.amdhsa_group_segment_fixed_size 0
		.amdhsa_private_segment_fixed_size 0
		.amdhsa_kernarg_size 92
		.amdhsa_user_sgpr_count 14
		.amdhsa_user_sgpr_dispatch_ptr 0
		.amdhsa_user_sgpr_queue_ptr 0
		.amdhsa_user_sgpr_kernarg_segment_ptr 1
		.amdhsa_user_sgpr_dispatch_id 0
		.amdhsa_user_sgpr_private_segment_size 0
		.amdhsa_wavefront_size32 1
		.amdhsa_uses_dynamic_stack 0
		.amdhsa_enable_private_segment 0
		.amdhsa_system_sgpr_workgroup_id_x 1
		.amdhsa_system_sgpr_workgroup_id_y 0
		.amdhsa_system_sgpr_workgroup_id_z 1
		.amdhsa_system_sgpr_workgroup_info 0
		.amdhsa_system_vgpr_workitem_id 0
		.amdhsa_next_free_vgpr 8
		.amdhsa_next_free_sgpr 16
		.amdhsa_reserve_vcc 1
		.amdhsa_float_round_mode_32 0
		.amdhsa_float_round_mode_16_64 0
		.amdhsa_float_denorm_mode_32 3
		.amdhsa_float_denorm_mode_16_64 3
		.amdhsa_dx10_clamp 1
		.amdhsa_ieee_mode 1
		.amdhsa_fp16_overflow 0
		.amdhsa_workgroup_processor_mode 1
		.amdhsa_memory_ordered 1
		.amdhsa_forward_progress 0
		.amdhsa_shared_vgpr_count 0
		.amdhsa_exception_fp_ieee_invalid_op 0
		.amdhsa_exception_fp_denorm_src 0
		.amdhsa_exception_fp_ieee_div_zero 0
		.amdhsa_exception_fp_ieee_overflow 0
		.amdhsa_exception_fp_ieee_underflow 0
		.amdhsa_exception_fp_ieee_inexact 0
		.amdhsa_exception_int_div_zero 0
	.end_amdhsa_kernel
	.section	.text._ZL19rocblas_axpy_kernelIlLi256EdPKdPKS1_PKPdEviT2_lT3_lT_lT4_lS9_li,"axG",@progbits,_ZL19rocblas_axpy_kernelIlLi256EdPKdPKS1_PKPdEviT2_lT3_lT_lT4_lS9_li,comdat
.Lfunc_end94:
	.size	_ZL19rocblas_axpy_kernelIlLi256EdPKdPKS1_PKPdEviT2_lT3_lT_lT4_lS9_li, .Lfunc_end94-_ZL19rocblas_axpy_kernelIlLi256EdPKdPKS1_PKPdEviT2_lT3_lT_lT4_lS9_li
                                        ; -- End function
	.section	.AMDGPU.csdata,"",@progbits
; Kernel info:
; codeLenInByte = 372
; NumSgprs: 18
; NumVgprs: 8
; ScratchSize: 0
; MemoryBound: 0
; FloatMode: 240
; IeeeMode: 1
; LDSByteSize: 0 bytes/workgroup (compile time only)
; SGPRBlocks: 2
; VGPRBlocks: 0
; NumSGPRsForWavesPerEU: 18
; NumVGPRsForWavesPerEU: 8
; Occupancy: 16
; WaveLimiterHint : 1
; COMPUTE_PGM_RSRC2:SCRATCH_EN: 0
; COMPUTE_PGM_RSRC2:USER_SGPR: 14
; COMPUTE_PGM_RSRC2:TRAP_HANDLER: 0
; COMPUTE_PGM_RSRC2:TGID_X_EN: 1
; COMPUTE_PGM_RSRC2:TGID_Y_EN: 0
; COMPUTE_PGM_RSRC2:TGID_Z_EN: 1
; COMPUTE_PGM_RSRC2:TIDIG_COMP_CNT: 0
	.section	.text._ZL19rocblas_axpy_kernelIlLi256EddPKPKdPKPdEviT2_lT3_lT_lT4_lS9_li,"axG",@progbits,_ZL19rocblas_axpy_kernelIlLi256EddPKPKdPKPdEviT2_lT3_lT_lT4_lS9_li,comdat
	.globl	_ZL19rocblas_axpy_kernelIlLi256EddPKPKdPKPdEviT2_lT3_lT_lT4_lS9_li ; -- Begin function _ZL19rocblas_axpy_kernelIlLi256EddPKPKdPKPdEviT2_lT3_lT_lT4_lS9_li
	.p2align	8
	.type	_ZL19rocblas_axpy_kernelIlLi256EddPKPKdPKPdEviT2_lT3_lT_lT4_lS9_li,@function
_ZL19rocblas_axpy_kernelIlLi256EddPKPKdPKPdEviT2_lT3_lT_lT4_lS9_li: ; @_ZL19rocblas_axpy_kernelIlLi256EddPKPKdPKPdEviT2_lT3_lT_lT4_lS9_li
; %bb.0:
	s_clause 0x1
	s_load_b64 s[2:3], s[0:1], 0x8
	s_load_b32 s6, s[0:1], 0x0
	v_lshl_or_b32 v0, s14, 8, v0
	v_mov_b32_e32 v1, 0
	s_waitcnt lgkmcnt(0)
	v_cmp_neq_f64_e64 s5, s[2:3], 0
	s_ashr_i32 s7, s6, 31
	s_delay_alu instid0(VALU_DEP_2) | instid1(SALU_CYCLE_1)
	v_cmp_gt_i64_e32 vcc_lo, s[6:7], v[0:1]
	s_delay_alu instid0(VALU_DEP_2) | instskip(NEXT) | instid1(SALU_CYCLE_1)
	s_and_b32 s5, s5, vcc_lo
	s_and_saveexec_b32 s6, s5
	s_cbranch_execz .LBB95_2
; %bb.1:
	s_load_b64 s[12:13], s[0:1], 0x18
	s_mov_b32 s4, s15
	s_mov_b32 s5, 0
	s_load_b128 s[8:11], s[0:1], 0x40
	s_lshl_b64 s[14:15], s[4:5], 3
	s_load_b128 s[4:7], s[0:1], 0x20
	s_waitcnt lgkmcnt(0)
	s_add_u32 s12, s12, s14
	s_addc_u32 s13, s13, s15
	s_load_b64 s[12:13], s[12:13], 0x0
	s_load_b64 s[0:1], s[0:1], 0x38
	v_mad_u64_u32 v[1:2], null, v0, s10, 0
	v_mad_u64_u32 v[3:4], null, v0, s6, 0
	s_lshl_b64 s[4:5], s[4:5], 3
	s_delay_alu instid0(VALU_DEP_1) | instskip(NEXT) | instid1(VALU_DEP_1)
	v_mad_u64_u32 v[5:6], null, v0, s11, v[2:3]
	v_mad_u64_u32 v[6:7], null, v0, s7, v[4:5]
	s_waitcnt lgkmcnt(0)
	s_add_u32 s6, s4, s12
	s_addc_u32 s10, s5, s13
	s_add_u32 s0, s0, s14
	s_addc_u32 s1, s1, s15
	v_mov_b32_e32 v2, v5
	s_load_b64 s[0:1], s[0:1], 0x0
	v_mov_b32_e32 v4, v6
	s_lshl_b64 s[4:5], s[8:9], 3
	s_delay_alu instid0(VALU_DEP_2) | instskip(NEXT) | instid1(VALU_DEP_2)
	v_lshlrev_b64 v[0:1], 3, v[1:2]
	v_lshlrev_b64 v[2:3], 3, v[3:4]
	s_waitcnt lgkmcnt(0)
	s_add_u32 s0, s4, s0
	s_addc_u32 s1, s5, s1
	s_delay_alu instid0(VALU_DEP_2)
	v_add_co_u32 v0, vcc_lo, s0, v0
	v_add_co_ci_u32_e32 v1, vcc_lo, s1, v1, vcc_lo
	v_add_co_u32 v2, vcc_lo, s6, v2
	v_add_co_ci_u32_e32 v3, vcc_lo, s10, v3, vcc_lo
	global_load_b64 v[4:5], v[0:1], off
	global_load_b64 v[2:3], v[2:3], off
	s_waitcnt vmcnt(0)
	v_fma_f64 v[2:3], v[2:3], s[2:3], v[4:5]
	global_store_b64 v[0:1], v[2:3], off
.LBB95_2:
	s_nop 0
	s_sendmsg sendmsg(MSG_DEALLOC_VGPRS)
	s_endpgm
	.section	.rodata,"a",@progbits
	.p2align	6, 0x0
	.amdhsa_kernel _ZL19rocblas_axpy_kernelIlLi256EddPKPKdPKPdEviT2_lT3_lT_lT4_lS9_li
		.amdhsa_group_segment_fixed_size 0
		.amdhsa_private_segment_fixed_size 0
		.amdhsa_kernarg_size 92
		.amdhsa_user_sgpr_count 14
		.amdhsa_user_sgpr_dispatch_ptr 0
		.amdhsa_user_sgpr_queue_ptr 0
		.amdhsa_user_sgpr_kernarg_segment_ptr 1
		.amdhsa_user_sgpr_dispatch_id 0
		.amdhsa_user_sgpr_private_segment_size 0
		.amdhsa_wavefront_size32 1
		.amdhsa_uses_dynamic_stack 0
		.amdhsa_enable_private_segment 0
		.amdhsa_system_sgpr_workgroup_id_x 1
		.amdhsa_system_sgpr_workgroup_id_y 0
		.amdhsa_system_sgpr_workgroup_id_z 1
		.amdhsa_system_sgpr_workgroup_info 0
		.amdhsa_system_vgpr_workitem_id 0
		.amdhsa_next_free_vgpr 8
		.amdhsa_next_free_sgpr 16
		.amdhsa_reserve_vcc 1
		.amdhsa_float_round_mode_32 0
		.amdhsa_float_round_mode_16_64 0
		.amdhsa_float_denorm_mode_32 3
		.amdhsa_float_denorm_mode_16_64 3
		.amdhsa_dx10_clamp 1
		.amdhsa_ieee_mode 1
		.amdhsa_fp16_overflow 0
		.amdhsa_workgroup_processor_mode 1
		.amdhsa_memory_ordered 1
		.amdhsa_forward_progress 0
		.amdhsa_shared_vgpr_count 0
		.amdhsa_exception_fp_ieee_invalid_op 0
		.amdhsa_exception_fp_denorm_src 0
		.amdhsa_exception_fp_ieee_div_zero 0
		.amdhsa_exception_fp_ieee_overflow 0
		.amdhsa_exception_fp_ieee_underflow 0
		.amdhsa_exception_fp_ieee_inexact 0
		.amdhsa_exception_int_div_zero 0
	.end_amdhsa_kernel
	.section	.text._ZL19rocblas_axpy_kernelIlLi256EddPKPKdPKPdEviT2_lT3_lT_lT4_lS9_li,"axG",@progbits,_ZL19rocblas_axpy_kernelIlLi256EddPKPKdPKPdEviT2_lT3_lT_lT4_lS9_li,comdat
.Lfunc_end95:
	.size	_ZL19rocblas_axpy_kernelIlLi256EddPKPKdPKPdEviT2_lT3_lT_lT4_lS9_li, .Lfunc_end95-_ZL19rocblas_axpy_kernelIlLi256EddPKPKdPKPdEviT2_lT3_lT_lT4_lS9_li
                                        ; -- End function
	.section	.AMDGPU.csdata,"",@progbits
; Kernel info:
; codeLenInByte = 324
; NumSgprs: 18
; NumVgprs: 8
; ScratchSize: 0
; MemoryBound: 0
; FloatMode: 240
; IeeeMode: 1
; LDSByteSize: 0 bytes/workgroup (compile time only)
; SGPRBlocks: 2
; VGPRBlocks: 0
; NumSGPRsForWavesPerEU: 18
; NumVGPRsForWavesPerEU: 8
; Occupancy: 16
; WaveLimiterHint : 1
; COMPUTE_PGM_RSRC2:SCRATCH_EN: 0
; COMPUTE_PGM_RSRC2:USER_SGPR: 14
; COMPUTE_PGM_RSRC2:TRAP_HANDLER: 0
; COMPUTE_PGM_RSRC2:TGID_X_EN: 1
; COMPUTE_PGM_RSRC2:TGID_Y_EN: 0
; COMPUTE_PGM_RSRC2:TGID_Z_EN: 1
; COMPUTE_PGM_RSRC2:TIDIG_COMP_CNT: 0
	.section	.text._ZL26rocblas_haxpy_mlt_8_kernelILi256EPKDF16_PKPK19rocblas_complex_numIfEPKPS3_EviT0_lT1_llT2_lli,"axG",@progbits,_ZL26rocblas_haxpy_mlt_8_kernelILi256EPKDF16_PKPK19rocblas_complex_numIfEPKPS3_EviT0_lT1_llT2_lli,comdat
	.globl	_ZL26rocblas_haxpy_mlt_8_kernelILi256EPKDF16_PKPK19rocblas_complex_numIfEPKPS3_EviT0_lT1_llT2_lli ; -- Begin function _ZL26rocblas_haxpy_mlt_8_kernelILi256EPKDF16_PKPK19rocblas_complex_numIfEPKPS3_EviT0_lT1_llT2_lli
	.p2align	8
	.type	_ZL26rocblas_haxpy_mlt_8_kernelILi256EPKDF16_PKPK19rocblas_complex_numIfEPKPS3_EviT0_lT1_llT2_lli,@function
_ZL26rocblas_haxpy_mlt_8_kernelILi256EPKDF16_PKPK19rocblas_complex_numIfEPKPS3_EviT0_lT1_llT2_lli: ; @_ZL26rocblas_haxpy_mlt_8_kernelILi256EPKDF16_PKPK19rocblas_complex_numIfEPKPS3_EviT0_lT1_llT2_lli
; %bb.0:
	s_load_b256 s[4:11], s[0:1], 0x8
	v_mov_b32_e32 v1, 0
	s_waitcnt lgkmcnt(0)
	s_mul_i32 s3, s15, s7
	s_mul_hi_u32 s7, s15, s6
	s_mul_i32 s6, s15, s6
	s_add_i32 s7, s7, s3
	s_mov_b32 s3, 0
	s_lshl_b64 s[6:7], s[6:7], 1
	s_delay_alu instid0(SALU_CYCLE_1) | instskip(SKIP_4) | instid1(VALU_DEP_1)
	s_add_u32 s4, s4, s6
	s_addc_u32 s5, s5, s7
	global_load_u16 v2, v1, s[4:5]
	s_waitcnt vmcnt(0)
	v_and_b32_e32 v3, 0xffff, v2
	v_lshl_or_b32 v3, v2, 16, v3
	s_delay_alu instid0(VALU_DEP_1) | instskip(NEXT) | instid1(VALU_DEP_1)
	v_and_b32_e32 v3, 0x7fff, v3
	v_cmp_eq_u32_e32 vcc_lo, 0, v3
	s_cbranch_vccnz .LBB96_3
; %bb.1:
	s_load_b32 s4, s[0:1], 0x0
	v_lshl_or_b32 v0, s14, 8, v0
	s_delay_alu instid0(VALU_DEP_1)
	v_lshlrev_b64 v[0:1], 3, v[0:1]
	s_waitcnt lgkmcnt(0)
	s_ashr_i32 s5, s4, 31
	s_delay_alu instid0(VALU_DEP_1) | instid1(SALU_CYCLE_1)
	v_cmp_gt_i64_e32 vcc_lo, s[4:5], v[0:1]
	s_and_saveexec_b32 s4, vcc_lo
	s_cbranch_execz .LBB96_3
; %bb.2:
	s_mov_b32 s2, s15
	v_lshlrev_b64 v[0:1], 3, v[0:1]
	s_lshl_b64 s[4:5], s[2:3], 3
	s_delay_alu instid0(SALU_CYCLE_1)
	s_add_u32 s2, s8, s4
	s_addc_u32 s3, s9, s5
	s_lshl_b64 s[8:9], s[10:11], 3
	s_load_b64 s[6:7], s[2:3], 0x0
	s_load_b128 s[0:3], s[0:1], 0x30
	s_waitcnt lgkmcnt(0)
	s_add_u32 s6, s8, s6
	s_addc_u32 s7, s9, s7
	s_add_u32 s0, s0, s4
	s_addc_u32 s1, s1, s5
	s_lshl_b64 s[2:3], s[2:3], 3
	s_load_b64 s[0:1], s[0:1], 0x0
	v_add_co_u32 v3, vcc_lo, s6, v0
	v_add_co_ci_u32_e32 v4, vcc_lo, s7, v1, vcc_lo
	s_waitcnt lgkmcnt(0)
	s_add_u32 s0, s2, s0
	s_addc_u32 s1, s3, s1
	v_add_co_u32 v0, vcc_lo, s0, v0
	v_add_co_ci_u32_e32 v1, vcc_lo, s1, v1, vcc_lo
	global_load_b128 v[3:6], v[3:4], off
	global_load_b128 v[7:10], v[0:1], off
	s_waitcnt vmcnt(0)
	v_pk_fma_f16 v6, v2, v6, v10 op_sel_hi:[0,1,1]
	v_pk_fma_f16 v5, v2, v5, v9 op_sel_hi:[0,1,1]
	;; [unrolled: 1-line block ×4, first 2 shown]
	global_store_b128 v[0:1], v[3:6], off
.LBB96_3:
	s_nop 0
	s_sendmsg sendmsg(MSG_DEALLOC_VGPRS)
	s_endpgm
	.section	.rodata,"a",@progbits
	.p2align	6, 0x0
	.amdhsa_kernel _ZL26rocblas_haxpy_mlt_8_kernelILi256EPKDF16_PKPK19rocblas_complex_numIfEPKPS3_EviT0_lT1_llT2_lli
		.amdhsa_group_segment_fixed_size 0
		.amdhsa_private_segment_fixed_size 0
		.amdhsa_kernarg_size 76
		.amdhsa_user_sgpr_count 14
		.amdhsa_user_sgpr_dispatch_ptr 0
		.amdhsa_user_sgpr_queue_ptr 0
		.amdhsa_user_sgpr_kernarg_segment_ptr 1
		.amdhsa_user_sgpr_dispatch_id 0
		.amdhsa_user_sgpr_private_segment_size 0
		.amdhsa_wavefront_size32 1
		.amdhsa_uses_dynamic_stack 0
		.amdhsa_enable_private_segment 0
		.amdhsa_system_sgpr_workgroup_id_x 1
		.amdhsa_system_sgpr_workgroup_id_y 0
		.amdhsa_system_sgpr_workgroup_id_z 1
		.amdhsa_system_sgpr_workgroup_info 0
		.amdhsa_system_vgpr_workitem_id 0
		.amdhsa_next_free_vgpr 11
		.amdhsa_next_free_sgpr 16
		.amdhsa_reserve_vcc 1
		.amdhsa_float_round_mode_32 0
		.amdhsa_float_round_mode_16_64 0
		.amdhsa_float_denorm_mode_32 3
		.amdhsa_float_denorm_mode_16_64 3
		.amdhsa_dx10_clamp 1
		.amdhsa_ieee_mode 1
		.amdhsa_fp16_overflow 0
		.amdhsa_workgroup_processor_mode 1
		.amdhsa_memory_ordered 1
		.amdhsa_forward_progress 0
		.amdhsa_shared_vgpr_count 0
		.amdhsa_exception_fp_ieee_invalid_op 0
		.amdhsa_exception_fp_denorm_src 0
		.amdhsa_exception_fp_ieee_div_zero 0
		.amdhsa_exception_fp_ieee_overflow 0
		.amdhsa_exception_fp_ieee_underflow 0
		.amdhsa_exception_fp_ieee_inexact 0
		.amdhsa_exception_int_div_zero 0
	.end_amdhsa_kernel
	.section	.text._ZL26rocblas_haxpy_mlt_8_kernelILi256EPKDF16_PKPK19rocblas_complex_numIfEPKPS3_EviT0_lT1_llT2_lli,"axG",@progbits,_ZL26rocblas_haxpy_mlt_8_kernelILi256EPKDF16_PKPK19rocblas_complex_numIfEPKPS3_EviT0_lT1_llT2_lli,comdat
.Lfunc_end96:
	.size	_ZL26rocblas_haxpy_mlt_8_kernelILi256EPKDF16_PKPK19rocblas_complex_numIfEPKPS3_EviT0_lT1_llT2_lli, .Lfunc_end96-_ZL26rocblas_haxpy_mlt_8_kernelILi256EPKDF16_PKPK19rocblas_complex_numIfEPKPS3_EviT0_lT1_llT2_lli
                                        ; -- End function
	.section	.AMDGPU.csdata,"",@progbits
; Kernel info:
; codeLenInByte = 340
; NumSgprs: 18
; NumVgprs: 11
; ScratchSize: 0
; MemoryBound: 0
; FloatMode: 240
; IeeeMode: 1
; LDSByteSize: 0 bytes/workgroup (compile time only)
; SGPRBlocks: 2
; VGPRBlocks: 1
; NumSGPRsForWavesPerEU: 18
; NumVGPRsForWavesPerEU: 11
; Occupancy: 16
; WaveLimiterHint : 1
; COMPUTE_PGM_RSRC2:SCRATCH_EN: 0
; COMPUTE_PGM_RSRC2:USER_SGPR: 14
; COMPUTE_PGM_RSRC2:TRAP_HANDLER: 0
; COMPUTE_PGM_RSRC2:TGID_X_EN: 1
; COMPUTE_PGM_RSRC2:TGID_Y_EN: 0
; COMPUTE_PGM_RSRC2:TGID_Z_EN: 1
; COMPUTE_PGM_RSRC2:TIDIG_COMP_CNT: 0
	.section	.text._ZL26rocblas_haxpy_mod_8_kernelILi256EPK19rocblas_complex_numIfEPKS3_PKPS1_EviT0_lT1_llT2_lli,"axG",@progbits,_ZL26rocblas_haxpy_mod_8_kernelILi256EPK19rocblas_complex_numIfEPKS3_PKPS1_EviT0_lT1_llT2_lli,comdat
	.globl	_ZL26rocblas_haxpy_mod_8_kernelILi256EPK19rocblas_complex_numIfEPKS3_PKPS1_EviT0_lT1_llT2_lli ; -- Begin function _ZL26rocblas_haxpy_mod_8_kernelILi256EPK19rocblas_complex_numIfEPKS3_PKPS1_EviT0_lT1_llT2_lli
	.p2align	8
	.type	_ZL26rocblas_haxpy_mod_8_kernelILi256EPK19rocblas_complex_numIfEPKS3_PKPS1_EviT0_lT1_llT2_lli,@function
_ZL26rocblas_haxpy_mod_8_kernelILi256EPK19rocblas_complex_numIfEPKS3_PKPS1_EviT0_lT1_llT2_lli: ; @_ZL26rocblas_haxpy_mod_8_kernelILi256EPK19rocblas_complex_numIfEPKS3_PKPS1_EviT0_lT1_llT2_lli
; %bb.0:
	s_clause 0x1
	s_load_b256 s[4:11], s[0:1], 0x8
	s_load_b32 s16, s[0:1], 0x0
	v_mov_b32_e32 v1, 0
	v_lshl_or_b32 v0, s14, 8, v0
	s_mov_b32 s13, 0
	s_waitcnt lgkmcnt(0)
	s_mul_i32 s3, s15, s7
	s_mul_hi_u32 s7, s15, s6
	s_mul_i32 s2, s15, s6
	s_add_i32 s3, s7, s3
	s_ashr_i32 s17, s16, 31
	s_lshl_b64 s[2:3], s[2:3], 3
	v_cmp_gt_i64_e32 vcc_lo, s[16:17], v[0:1]
	s_add_u32 s2, s4, s2
	s_addc_u32 s3, s5, s3
	s_load_b64 s[2:3], s[2:3], 0x0
	s_waitcnt lgkmcnt(0)
	s_or_b32 s4, s2, s3
	s_delay_alu instid0(SALU_CYCLE_1) | instskip(NEXT) | instid1(SALU_CYCLE_1)
	s_bitset0_b32 s4, 31
	s_cmp_lg_u32 s4, 0
	s_cselect_b32 s4, -1, 0
	s_delay_alu instid0(SALU_CYCLE_1) | instskip(NEXT) | instid1(SALU_CYCLE_1)
	s_and_b32 s4, vcc_lo, s4
	s_and_saveexec_b32 s5, s4
	s_cbranch_execz .LBB97_2
; %bb.1:
	s_mov_b32 s12, s15
	v_lshlrev_b64 v[0:1], 3, v[0:1]
	s_lshl_b64 s[12:13], s[12:13], 3
	s_delay_alu instid0(SALU_CYCLE_1)
	s_add_u32 s4, s8, s12
	s_addc_u32 s5, s9, s13
	s_load_b64 s[8:9], s[4:5], 0x0
	s_load_b128 s[4:7], s[0:1], 0x30
	s_lshl_b64 s[0:1], s[10:11], 3
	s_waitcnt lgkmcnt(0)
	s_add_u32 s8, s0, s8
	s_addc_u32 s9, s1, s9
	s_add_u32 s0, s4, s12
	s_addc_u32 s1, s5, s13
	v_add_co_u32 v2, vcc_lo, s8, v0
	s_load_b64 s[0:1], s[0:1], 0x0
	v_add_co_ci_u32_e32 v3, vcc_lo, s9, v1, vcc_lo
	s_lshl_b64 s[4:5], s[6:7], 3
	global_load_b64 v[2:3], v[2:3], off
	s_waitcnt lgkmcnt(0)
	s_add_u32 s0, s4, s0
	s_addc_u32 s1, s5, s1
	v_add_co_u32 v0, vcc_lo, s0, v0
	v_add_co_ci_u32_e32 v1, vcc_lo, s1, v1, vcc_lo
	global_load_b64 v[4:5], v[0:1], off
	s_waitcnt vmcnt(1)
	v_mul_f32_e32 v6, s3, v3
	v_mul_f32_e32 v3, s2, v3
	s_delay_alu instid0(VALU_DEP_1) | instskip(NEXT) | instid1(VALU_DEP_3)
	v_fmac_f32_e32 v3, s3, v2
	v_fma_f32 v6, v2, s2, -v6
	s_waitcnt vmcnt(0)
	s_delay_alu instid0(VALU_DEP_1)
	v_dual_add_f32 v2, v4, v6 :: v_dual_add_f32 v3, v5, v3
	global_store_b64 v[0:1], v[2:3], off
.LBB97_2:
	s_nop 0
	s_sendmsg sendmsg(MSG_DEALLOC_VGPRS)
	s_endpgm
	.section	.rodata,"a",@progbits
	.p2align	6, 0x0
	.amdhsa_kernel _ZL26rocblas_haxpy_mod_8_kernelILi256EPK19rocblas_complex_numIfEPKS3_PKPS1_EviT0_lT1_llT2_lli
		.amdhsa_group_segment_fixed_size 0
		.amdhsa_private_segment_fixed_size 0
		.amdhsa_kernarg_size 76
		.amdhsa_user_sgpr_count 14
		.amdhsa_user_sgpr_dispatch_ptr 0
		.amdhsa_user_sgpr_queue_ptr 0
		.amdhsa_user_sgpr_kernarg_segment_ptr 1
		.amdhsa_user_sgpr_dispatch_id 0
		.amdhsa_user_sgpr_private_segment_size 0
		.amdhsa_wavefront_size32 1
		.amdhsa_uses_dynamic_stack 0
		.amdhsa_enable_private_segment 0
		.amdhsa_system_sgpr_workgroup_id_x 1
		.amdhsa_system_sgpr_workgroup_id_y 0
		.amdhsa_system_sgpr_workgroup_id_z 1
		.amdhsa_system_sgpr_workgroup_info 0
		.amdhsa_system_vgpr_workitem_id 0
		.amdhsa_next_free_vgpr 7
		.amdhsa_next_free_sgpr 18
		.amdhsa_reserve_vcc 1
		.amdhsa_float_round_mode_32 0
		.amdhsa_float_round_mode_16_64 0
		.amdhsa_float_denorm_mode_32 3
		.amdhsa_float_denorm_mode_16_64 3
		.amdhsa_dx10_clamp 1
		.amdhsa_ieee_mode 1
		.amdhsa_fp16_overflow 0
		.amdhsa_workgroup_processor_mode 1
		.amdhsa_memory_ordered 1
		.amdhsa_forward_progress 0
		.amdhsa_shared_vgpr_count 0
		.amdhsa_exception_fp_ieee_invalid_op 0
		.amdhsa_exception_fp_denorm_src 0
		.amdhsa_exception_fp_ieee_div_zero 0
		.amdhsa_exception_fp_ieee_overflow 0
		.amdhsa_exception_fp_ieee_underflow 0
		.amdhsa_exception_fp_ieee_inexact 0
		.amdhsa_exception_int_div_zero 0
	.end_amdhsa_kernel
	.section	.text._ZL26rocblas_haxpy_mod_8_kernelILi256EPK19rocblas_complex_numIfEPKS3_PKPS1_EviT0_lT1_llT2_lli,"axG",@progbits,_ZL26rocblas_haxpy_mod_8_kernelILi256EPK19rocblas_complex_numIfEPKS3_PKPS1_EviT0_lT1_llT2_lli,comdat
.Lfunc_end97:
	.size	_ZL26rocblas_haxpy_mod_8_kernelILi256EPK19rocblas_complex_numIfEPKS3_PKPS1_EviT0_lT1_llT2_lli, .Lfunc_end97-_ZL26rocblas_haxpy_mod_8_kernelILi256EPK19rocblas_complex_numIfEPKS3_PKPS1_EviT0_lT1_llT2_lli
                                        ; -- End function
	.section	.AMDGPU.csdata,"",@progbits
; Kernel info:
; codeLenInByte = 320
; NumSgprs: 20
; NumVgprs: 7
; ScratchSize: 0
; MemoryBound: 0
; FloatMode: 240
; IeeeMode: 1
; LDSByteSize: 0 bytes/workgroup (compile time only)
; SGPRBlocks: 2
; VGPRBlocks: 0
; NumSGPRsForWavesPerEU: 20
; NumVGPRsForWavesPerEU: 7
; Occupancy: 16
; WaveLimiterHint : 1
; COMPUTE_PGM_RSRC2:SCRATCH_EN: 0
; COMPUTE_PGM_RSRC2:USER_SGPR: 14
; COMPUTE_PGM_RSRC2:TRAP_HANDLER: 0
; COMPUTE_PGM_RSRC2:TGID_X_EN: 1
; COMPUTE_PGM_RSRC2:TGID_Y_EN: 0
; COMPUTE_PGM_RSRC2:TGID_Z_EN: 1
; COMPUTE_PGM_RSRC2:TIDIG_COMP_CNT: 0
	.section	.text._ZL26rocblas_haxpy_mlt_8_kernelILi256EDF16_PKPK19rocblas_complex_numIfEPKPS1_EviT0_lT1_llT2_lli,"axG",@progbits,_ZL26rocblas_haxpy_mlt_8_kernelILi256EDF16_PKPK19rocblas_complex_numIfEPKPS1_EviT0_lT1_llT2_lli,comdat
	.globl	_ZL26rocblas_haxpy_mlt_8_kernelILi256EDF16_PKPK19rocblas_complex_numIfEPKPS1_EviT0_lT1_llT2_lli ; -- Begin function _ZL26rocblas_haxpy_mlt_8_kernelILi256EDF16_PKPK19rocblas_complex_numIfEPKPS1_EviT0_lT1_llT2_lli
	.p2align	8
	.type	_ZL26rocblas_haxpy_mlt_8_kernelILi256EDF16_PKPK19rocblas_complex_numIfEPKPS1_EviT0_lT1_llT2_lli,@function
_ZL26rocblas_haxpy_mlt_8_kernelILi256EDF16_PKPK19rocblas_complex_numIfEPKPS1_EviT0_lT1_llT2_lli: ; @_ZL26rocblas_haxpy_mlt_8_kernelILi256EDF16_PKPK19rocblas_complex_numIfEPKPS1_EviT0_lT1_llT2_lli
; %bb.0:
	s_load_b64 s[2:3], s[0:1], 0x0
	s_waitcnt lgkmcnt(0)
	s_pack_ll_b32_b16 s5, s3, s3
	s_delay_alu instid0(SALU_CYCLE_1) | instskip(NEXT) | instid1(SALU_CYCLE_1)
	s_and_b32 s5, s5, 0x7fff
	s_cmp_eq_u32 s5, 0
	s_cbranch_scc1 .LBB98_3
; %bb.1:
	v_lshl_or_b32 v0, s14, 8, v0
	v_mov_b32_e32 v1, 0
	s_ashr_i32 s7, s2, 31
	s_mov_b32 s6, s2
	s_mov_b32 s2, exec_lo
	s_delay_alu instid0(VALU_DEP_1) | instskip(NEXT) | instid1(VALU_DEP_1)
	v_lshlrev_b64 v[0:1], 3, v[0:1]
	v_cmpx_gt_i64_e64 s[6:7], v[0:1]
	s_cbranch_execz .LBB98_3
; %bb.2:
	s_load_b128 s[8:11], s[0:1], 0x10
	s_mov_b32 s4, s15
	s_mov_b32 s5, 0
	v_lshlrev_b64 v[0:1], 3, v[0:1]
	s_lshl_b64 s[12:13], s[4:5], 3
	s_load_b128 s[4:7], s[0:1], 0x28
	s_waitcnt lgkmcnt(0)
	s_add_u32 s0, s8, s12
	s_addc_u32 s1, s9, s13
	s_lshl_b64 s[8:9], s[10:11], 3
	s_load_b64 s[0:1], s[0:1], 0x0
	s_waitcnt lgkmcnt(0)
	s_add_u32 s2, s8, s0
	s_addc_u32 s8, s9, s1
	s_add_u32 s0, s4, s12
	s_addc_u32 s1, s5, s13
	s_lshl_b64 s[4:5], s[6:7], 3
	s_load_b64 s[0:1], s[0:1], 0x0
	v_add_co_u32 v2, vcc_lo, s2, v0
	v_add_co_ci_u32_e32 v3, vcc_lo, s8, v1, vcc_lo
	s_waitcnt lgkmcnt(0)
	s_add_u32 s0, s4, s0
	s_addc_u32 s1, s5, s1
	v_add_co_u32 v8, vcc_lo, s0, v0
	v_add_co_ci_u32_e32 v9, vcc_lo, s1, v1, vcc_lo
	global_load_b128 v[0:3], v[2:3], off
	global_load_b128 v[4:7], v[8:9], off
	s_waitcnt vmcnt(0)
	v_pk_fma_f16 v3, s3, v3, v7 op_sel_hi:[0,1,1]
	v_pk_fma_f16 v2, s3, v2, v6 op_sel_hi:[0,1,1]
	;; [unrolled: 1-line block ×4, first 2 shown]
	global_store_b128 v[8:9], v[0:3], off
.LBB98_3:
	s_nop 0
	s_sendmsg sendmsg(MSG_DEALLOC_VGPRS)
	s_endpgm
	.section	.rodata,"a",@progbits
	.p2align	6, 0x0
	.amdhsa_kernel _ZL26rocblas_haxpy_mlt_8_kernelILi256EDF16_PKPK19rocblas_complex_numIfEPKPS1_EviT0_lT1_llT2_lli
		.amdhsa_group_segment_fixed_size 0
		.amdhsa_private_segment_fixed_size 0
		.amdhsa_kernarg_size 68
		.amdhsa_user_sgpr_count 14
		.amdhsa_user_sgpr_dispatch_ptr 0
		.amdhsa_user_sgpr_queue_ptr 0
		.amdhsa_user_sgpr_kernarg_segment_ptr 1
		.amdhsa_user_sgpr_dispatch_id 0
		.amdhsa_user_sgpr_private_segment_size 0
		.amdhsa_wavefront_size32 1
		.amdhsa_uses_dynamic_stack 0
		.amdhsa_enable_private_segment 0
		.amdhsa_system_sgpr_workgroup_id_x 1
		.amdhsa_system_sgpr_workgroup_id_y 0
		.amdhsa_system_sgpr_workgroup_id_z 1
		.amdhsa_system_sgpr_workgroup_info 0
		.amdhsa_system_vgpr_workitem_id 0
		.amdhsa_next_free_vgpr 10
		.amdhsa_next_free_sgpr 16
		.amdhsa_reserve_vcc 1
		.amdhsa_float_round_mode_32 0
		.amdhsa_float_round_mode_16_64 0
		.amdhsa_float_denorm_mode_32 3
		.amdhsa_float_denorm_mode_16_64 3
		.amdhsa_dx10_clamp 1
		.amdhsa_ieee_mode 1
		.amdhsa_fp16_overflow 0
		.amdhsa_workgroup_processor_mode 1
		.amdhsa_memory_ordered 1
		.amdhsa_forward_progress 0
		.amdhsa_shared_vgpr_count 0
		.amdhsa_exception_fp_ieee_invalid_op 0
		.amdhsa_exception_fp_denorm_src 0
		.amdhsa_exception_fp_ieee_div_zero 0
		.amdhsa_exception_fp_ieee_overflow 0
		.amdhsa_exception_fp_ieee_underflow 0
		.amdhsa_exception_fp_ieee_inexact 0
		.amdhsa_exception_int_div_zero 0
	.end_amdhsa_kernel
	.section	.text._ZL26rocblas_haxpy_mlt_8_kernelILi256EDF16_PKPK19rocblas_complex_numIfEPKPS1_EviT0_lT1_llT2_lli,"axG",@progbits,_ZL26rocblas_haxpy_mlt_8_kernelILi256EDF16_PKPK19rocblas_complex_numIfEPKPS1_EviT0_lT1_llT2_lli,comdat
.Lfunc_end98:
	.size	_ZL26rocblas_haxpy_mlt_8_kernelILi256EDF16_PKPK19rocblas_complex_numIfEPKPS1_EviT0_lT1_llT2_lli, .Lfunc_end98-_ZL26rocblas_haxpy_mlt_8_kernelILi256EDF16_PKPK19rocblas_complex_numIfEPKPS1_EviT0_lT1_llT2_lli
                                        ; -- End function
	.section	.AMDGPU.csdata,"",@progbits
; Kernel info:
; codeLenInByte = 284
; NumSgprs: 18
; NumVgprs: 10
; ScratchSize: 0
; MemoryBound: 0
; FloatMode: 240
; IeeeMode: 1
; LDSByteSize: 0 bytes/workgroup (compile time only)
; SGPRBlocks: 2
; VGPRBlocks: 1
; NumSGPRsForWavesPerEU: 18
; NumVGPRsForWavesPerEU: 10
; Occupancy: 16
; WaveLimiterHint : 1
; COMPUTE_PGM_RSRC2:SCRATCH_EN: 0
; COMPUTE_PGM_RSRC2:USER_SGPR: 14
; COMPUTE_PGM_RSRC2:TRAP_HANDLER: 0
; COMPUTE_PGM_RSRC2:TGID_X_EN: 1
; COMPUTE_PGM_RSRC2:TGID_Y_EN: 0
; COMPUTE_PGM_RSRC2:TGID_Z_EN: 1
; COMPUTE_PGM_RSRC2:TIDIG_COMP_CNT: 0
	.section	.text._ZL26rocblas_haxpy_mod_8_kernelILi256E19rocblas_complex_numIfEPKPKS1_PKPS1_EviT0_lT1_llT2_lli,"axG",@progbits,_ZL26rocblas_haxpy_mod_8_kernelILi256E19rocblas_complex_numIfEPKPKS1_PKPS1_EviT0_lT1_llT2_lli,comdat
	.globl	_ZL26rocblas_haxpy_mod_8_kernelILi256E19rocblas_complex_numIfEPKPKS1_PKPS1_EviT0_lT1_llT2_lli ; -- Begin function _ZL26rocblas_haxpy_mod_8_kernelILi256E19rocblas_complex_numIfEPKPKS1_PKPS1_EviT0_lT1_llT2_lli
	.p2align	8
	.type	_ZL26rocblas_haxpy_mod_8_kernelILi256E19rocblas_complex_numIfEPKPKS1_PKPS1_EviT0_lT1_llT2_lli,@function
_ZL26rocblas_haxpy_mod_8_kernelILi256E19rocblas_complex_numIfEPKPKS1_PKPS1_EviT0_lT1_llT2_lli: ; @_ZL26rocblas_haxpy_mod_8_kernelILi256E19rocblas_complex_numIfEPKPKS1_PKPS1_EviT0_lT1_llT2_lli
; %bb.0:
	s_load_b128 s[4:7], s[0:1], 0x0
	v_mov_b32_e32 v1, 0
	v_lshl_or_b32 v0, s14, 8, v0
	s_waitcnt lgkmcnt(0)
	s_or_b32 s3, s5, s6
	s_mov_b32 s8, s4
	s_bitset0_b32 s3, 31
	s_delay_alu instid0(SALU_CYCLE_1) | instskip(SKIP_3) | instid1(SALU_CYCLE_1)
	s_cmp_lg_u32 s3, 0
	s_mov_b32 s3, 0
	s_cselect_b32 s7, -1, 0
	s_ashr_i32 s9, s4, 31
	v_cmp_gt_i64_e32 vcc_lo, s[8:9], v[0:1]
	s_and_b32 s4, vcc_lo, s7
	s_delay_alu instid0(SALU_CYCLE_1)
	s_and_saveexec_b32 s7, s4
	s_cbranch_execz .LBB99_2
; %bb.1:
	s_load_b128 s[8:11], s[0:1], 0x18
	s_mov_b32 s2, s15
	v_lshlrev_b64 v[0:1], 3, v[0:1]
	s_lshl_b64 s[12:13], s[2:3], 3
	s_load_b128 s[0:3], s[0:1], 0x30
	s_waitcnt lgkmcnt(0)
	s_add_u32 s8, s8, s12
	s_addc_u32 s9, s9, s13
	s_lshl_b64 s[10:11], s[10:11], 3
	s_load_b64 s[8:9], s[8:9], 0x0
	s_waitcnt lgkmcnt(0)
	s_add_u32 s4, s10, s8
	s_addc_u32 s7, s11, s9
	s_add_u32 s0, s0, s12
	s_addc_u32 s1, s1, s13
	v_add_co_u32 v2, vcc_lo, s4, v0
	s_load_b64 s[0:1], s[0:1], 0x0
	v_add_co_ci_u32_e32 v3, vcc_lo, s7, v1, vcc_lo
	s_lshl_b64 s[2:3], s[2:3], 3
	global_load_b64 v[2:3], v[2:3], off
	s_waitcnt lgkmcnt(0)
	s_add_u32 s0, s2, s0
	s_addc_u32 s1, s3, s1
	v_add_co_u32 v0, vcc_lo, s0, v0
	v_add_co_ci_u32_e32 v1, vcc_lo, s1, v1, vcc_lo
	global_load_b64 v[4:5], v[0:1], off
	s_waitcnt vmcnt(1)
	v_mul_f32_e32 v6, s6, v3
	v_mul_f32_e32 v3, s5, v3
	s_delay_alu instid0(VALU_DEP_1) | instskip(NEXT) | instid1(VALU_DEP_3)
	v_fmac_f32_e32 v3, s6, v2
	v_fma_f32 v6, v2, s5, -v6
	s_waitcnt vmcnt(0)
	s_delay_alu instid0(VALU_DEP_1)
	v_dual_add_f32 v2, v4, v6 :: v_dual_add_f32 v3, v5, v3
	global_store_b64 v[0:1], v[2:3], off
.LBB99_2:
	s_nop 0
	s_sendmsg sendmsg(MSG_DEALLOC_VGPRS)
	s_endpgm
	.section	.rodata,"a",@progbits
	.p2align	6, 0x0
	.amdhsa_kernel _ZL26rocblas_haxpy_mod_8_kernelILi256E19rocblas_complex_numIfEPKPKS1_PKPS1_EviT0_lT1_llT2_lli
		.amdhsa_group_segment_fixed_size 0
		.amdhsa_private_segment_fixed_size 0
		.amdhsa_kernarg_size 76
		.amdhsa_user_sgpr_count 14
		.amdhsa_user_sgpr_dispatch_ptr 0
		.amdhsa_user_sgpr_queue_ptr 0
		.amdhsa_user_sgpr_kernarg_segment_ptr 1
		.amdhsa_user_sgpr_dispatch_id 0
		.amdhsa_user_sgpr_private_segment_size 0
		.amdhsa_wavefront_size32 1
		.amdhsa_uses_dynamic_stack 0
		.amdhsa_enable_private_segment 0
		.amdhsa_system_sgpr_workgroup_id_x 1
		.amdhsa_system_sgpr_workgroup_id_y 0
		.amdhsa_system_sgpr_workgroup_id_z 1
		.amdhsa_system_sgpr_workgroup_info 0
		.amdhsa_system_vgpr_workitem_id 0
		.amdhsa_next_free_vgpr 7
		.amdhsa_next_free_sgpr 16
		.amdhsa_reserve_vcc 1
		.amdhsa_float_round_mode_32 0
		.amdhsa_float_round_mode_16_64 0
		.amdhsa_float_denorm_mode_32 3
		.amdhsa_float_denorm_mode_16_64 3
		.amdhsa_dx10_clamp 1
		.amdhsa_ieee_mode 1
		.amdhsa_fp16_overflow 0
		.amdhsa_workgroup_processor_mode 1
		.amdhsa_memory_ordered 1
		.amdhsa_forward_progress 0
		.amdhsa_shared_vgpr_count 0
		.amdhsa_exception_fp_ieee_invalid_op 0
		.amdhsa_exception_fp_denorm_src 0
		.amdhsa_exception_fp_ieee_div_zero 0
		.amdhsa_exception_fp_ieee_overflow 0
		.amdhsa_exception_fp_ieee_underflow 0
		.amdhsa_exception_fp_ieee_inexact 0
		.amdhsa_exception_int_div_zero 0
	.end_amdhsa_kernel
	.section	.text._ZL26rocblas_haxpy_mod_8_kernelILi256E19rocblas_complex_numIfEPKPKS1_PKPS1_EviT0_lT1_llT2_lli,"axG",@progbits,_ZL26rocblas_haxpy_mod_8_kernelILi256E19rocblas_complex_numIfEPKPKS1_PKPS1_EviT0_lT1_llT2_lli,comdat
.Lfunc_end99:
	.size	_ZL26rocblas_haxpy_mod_8_kernelILi256E19rocblas_complex_numIfEPKPKS1_PKPS1_EviT0_lT1_llT2_lli, .Lfunc_end99-_ZL26rocblas_haxpy_mod_8_kernelILi256E19rocblas_complex_numIfEPKPKS1_PKPS1_EviT0_lT1_llT2_lli
                                        ; -- End function
	.section	.AMDGPU.csdata,"",@progbits
; Kernel info:
; codeLenInByte = 280
; NumSgprs: 18
; NumVgprs: 7
; ScratchSize: 0
; MemoryBound: 0
; FloatMode: 240
; IeeeMode: 1
; LDSByteSize: 0 bytes/workgroup (compile time only)
; SGPRBlocks: 2
; VGPRBlocks: 0
; NumSGPRsForWavesPerEU: 18
; NumVGPRsForWavesPerEU: 7
; Occupancy: 16
; WaveLimiterHint : 1
; COMPUTE_PGM_RSRC2:SCRATCH_EN: 0
; COMPUTE_PGM_RSRC2:USER_SGPR: 14
; COMPUTE_PGM_RSRC2:TRAP_HANDLER: 0
; COMPUTE_PGM_RSRC2:TGID_X_EN: 1
; COMPUTE_PGM_RSRC2:TGID_Y_EN: 0
; COMPUTE_PGM_RSRC2:TGID_Z_EN: 1
; COMPUTE_PGM_RSRC2:TIDIG_COMP_CNT: 0
	.section	.text._ZL22rocblas_saxpy_2_kernelILi256E19rocblas_complex_numIfEPKS1_PKS3_PKPS1_EviT1_lT2_llT3_lli,"axG",@progbits,_ZL22rocblas_saxpy_2_kernelILi256E19rocblas_complex_numIfEPKS1_PKS3_PKPS1_EviT1_lT2_llT3_lli,comdat
	.globl	_ZL22rocblas_saxpy_2_kernelILi256E19rocblas_complex_numIfEPKS1_PKS3_PKPS1_EviT1_lT2_llT3_lli ; -- Begin function _ZL22rocblas_saxpy_2_kernelILi256E19rocblas_complex_numIfEPKS1_PKS3_PKPS1_EviT1_lT2_llT3_lli
	.p2align	8
	.type	_ZL22rocblas_saxpy_2_kernelILi256E19rocblas_complex_numIfEPKS1_PKS3_PKPS1_EviT1_lT2_llT3_lli,@function
_ZL22rocblas_saxpy_2_kernelILi256E19rocblas_complex_numIfEPKS1_PKS3_PKPS1_EviT1_lT2_llT3_lli: ; @_ZL22rocblas_saxpy_2_kernelILi256E19rocblas_complex_numIfEPKS1_PKS3_PKPS1_EviT1_lT2_llT3_lli
; %bb.0:
	s_load_b128 s[8:11], s[0:1], 0x8
	s_waitcnt lgkmcnt(0)
	s_mul_i32 s2, s15, s11
	s_mul_hi_u32 s3, s15, s10
	s_delay_alu instid0(SALU_CYCLE_1) | instskip(SKIP_1) | instid1(SALU_CYCLE_1)
	s_add_i32 s3, s3, s2
	s_mul_i32 s2, s15, s10
	s_lshl_b64 s[2:3], s[2:3], 3
	s_delay_alu instid0(SALU_CYCLE_1) | instskip(SKIP_4) | instid1(SALU_CYCLE_1)
	s_add_u32 s2, s8, s2
	s_addc_u32 s3, s9, s3
	s_load_b64 s[2:3], s[2:3], 0x0
	s_waitcnt lgkmcnt(0)
	s_or_b32 s5, s2, s3
	s_bitset0_b32 s5, 31
	s_delay_alu instid0(SALU_CYCLE_1)
	s_cmp_eq_u32 s5, 0
	s_mov_b32 s5, 0
	s_cbranch_scc1 .LBB100_5
; %bb.1:
	s_clause 0x1
	s_load_b128 s[8:11], s[0:1], 0x18
	s_load_b32 s6, s[0:1], 0x0
	s_mov_b32 s4, s15
	v_dual_mov_b32 v3, 0 :: v_dual_lshlrev_b32 v0, 1, v0
	s_lshl_b64 s[12:13], s[4:5], 3
	s_delay_alu instid0(VALU_DEP_1) | instskip(NEXT) | instid1(VALU_DEP_1)
	v_lshl_or_b32 v2, s14, 9, v0
	v_lshlrev_b64 v[0:1], 3, v[2:3]
	s_waitcnt lgkmcnt(0)
	s_add_u32 s4, s8, s12
	s_addc_u32 s5, s9, s13
	s_load_b64 s[4:5], s[4:5], 0x0
	s_load_b128 s[16:19], s[0:1], 0x30
	s_lshl_b64 s[0:1], s[10:11], 3
	s_waitcnt lgkmcnt(0)
	s_add_u32 s4, s4, s0
	s_addc_u32 s5, s5, s1
	s_add_u32 s0, s16, s12
	s_addc_u32 s1, s17, s13
	s_lshl_b64 s[8:9], s[18:19], 3
	s_load_b64 s[0:1], s[0:1], 0x0
	s_waitcnt lgkmcnt(0)
	s_add_u32 s7, s0, s8
	s_addc_u32 s8, s1, s9
	s_add_i32 s0, s6, -1
	s_mov_b32 s9, exec_lo
	s_ashr_i32 s1, s0, 31
	s_delay_alu instid0(SALU_CYCLE_1)
	v_cmpx_gt_i64_e64 s[0:1], v[2:3]
	s_cbranch_execz .LBB100_3
; %bb.2:
	v_add_co_u32 v8, vcc_lo, s4, v0
	v_add_co_ci_u32_e32 v9, vcc_lo, s5, v1, vcc_lo
	v_add_co_u32 v12, vcc_lo, s7, v0
	v_add_co_ci_u32_e32 v13, vcc_lo, s8, v1, vcc_lo
	global_load_b64 v[10:11], v[8:9], off
	global_load_b128 v[4:7], v[12:13], off
	s_waitcnt vmcnt(1)
	v_mul_f32_e32 v14, s3, v11
	v_mul_f32_e32 v11, s2, v11
	s_delay_alu instid0(VALU_DEP_1) | instskip(NEXT) | instid1(VALU_DEP_3)
	v_fmac_f32_e32 v11, s3, v10
	v_fma_f32 v14, v10, s2, -v14
	s_waitcnt vmcnt(0)
	s_delay_alu instid0(VALU_DEP_1)
	v_dual_add_f32 v5, v11, v5 :: v_dual_add_f32 v4, v14, v4
	global_store_b64 v[12:13], v[4:5], off
	global_load_b64 v[4:5], v[8:9], off offset:8
	s_waitcnt vmcnt(0)
	v_mul_f32_e32 v8, s3, v5
	v_mul_f32_e32 v5, s2, v5
	s_delay_alu instid0(VALU_DEP_1) | instskip(NEXT) | instid1(VALU_DEP_3)
	v_fmac_f32_e32 v5, s3, v4
	v_fma_f32 v8, v4, s2, -v8
	s_delay_alu instid0(VALU_DEP_1)
	v_dual_add_f32 v5, v5, v7 :: v_dual_add_f32 v4, v8, v6
	global_store_b64 v[12:13], v[4:5], off offset:8
.LBB100_3:
	s_or_b32 exec_lo, exec_lo, s9
	v_cmp_eq_u64_e32 vcc_lo, s[0:1], v[2:3]
	s_bitcmp1_b32 s6, 0
	s_cselect_b32 s0, -1, 0
	s_delay_alu instid0(SALU_CYCLE_1) | instskip(NEXT) | instid1(SALU_CYCLE_1)
	s_and_b32 s0, s0, vcc_lo
	s_and_saveexec_b32 s1, s0
	s_cbranch_execz .LBB100_5
; %bb.4:
	v_add_co_u32 v2, vcc_lo, s4, v0
	v_add_co_ci_u32_e32 v3, vcc_lo, s5, v1, vcc_lo
	v_add_co_u32 v0, vcc_lo, s7, v0
	v_add_co_ci_u32_e32 v1, vcc_lo, s8, v1, vcc_lo
	global_load_b64 v[2:3], v[2:3], off
	global_load_b64 v[4:5], v[0:1], off
	s_waitcnt vmcnt(1)
	v_mul_f32_e32 v6, s3, v3
	v_mul_f32_e32 v3, s2, v3
	s_delay_alu instid0(VALU_DEP_1) | instskip(NEXT) | instid1(VALU_DEP_3)
	v_fmac_f32_e32 v3, s3, v2
	v_fma_f32 v6, v2, s2, -v6
	s_waitcnt vmcnt(0)
	s_delay_alu instid0(VALU_DEP_1)
	v_dual_add_f32 v3, v3, v5 :: v_dual_add_f32 v2, v6, v4
	global_store_b64 v[0:1], v[2:3], off
.LBB100_5:
	s_nop 0
	s_sendmsg sendmsg(MSG_DEALLOC_VGPRS)
	s_endpgm
	.section	.rodata,"a",@progbits
	.p2align	6, 0x0
	.amdhsa_kernel _ZL22rocblas_saxpy_2_kernelILi256E19rocblas_complex_numIfEPKS1_PKS3_PKPS1_EviT1_lT2_llT3_lli
		.amdhsa_group_segment_fixed_size 0
		.amdhsa_private_segment_fixed_size 0
		.amdhsa_kernarg_size 76
		.amdhsa_user_sgpr_count 14
		.amdhsa_user_sgpr_dispatch_ptr 0
		.amdhsa_user_sgpr_queue_ptr 0
		.amdhsa_user_sgpr_kernarg_segment_ptr 1
		.amdhsa_user_sgpr_dispatch_id 0
		.amdhsa_user_sgpr_private_segment_size 0
		.amdhsa_wavefront_size32 1
		.amdhsa_uses_dynamic_stack 0
		.amdhsa_enable_private_segment 0
		.amdhsa_system_sgpr_workgroup_id_x 1
		.amdhsa_system_sgpr_workgroup_id_y 0
		.amdhsa_system_sgpr_workgroup_id_z 1
		.amdhsa_system_sgpr_workgroup_info 0
		.amdhsa_system_vgpr_workitem_id 0
		.amdhsa_next_free_vgpr 15
		.amdhsa_next_free_sgpr 20
		.amdhsa_reserve_vcc 1
		.amdhsa_float_round_mode_32 0
		.amdhsa_float_round_mode_16_64 0
		.amdhsa_float_denorm_mode_32 3
		.amdhsa_float_denorm_mode_16_64 3
		.amdhsa_dx10_clamp 1
		.amdhsa_ieee_mode 1
		.amdhsa_fp16_overflow 0
		.amdhsa_workgroup_processor_mode 1
		.amdhsa_memory_ordered 1
		.amdhsa_forward_progress 0
		.amdhsa_shared_vgpr_count 0
		.amdhsa_exception_fp_ieee_invalid_op 0
		.amdhsa_exception_fp_denorm_src 0
		.amdhsa_exception_fp_ieee_div_zero 0
		.amdhsa_exception_fp_ieee_overflow 0
		.amdhsa_exception_fp_ieee_underflow 0
		.amdhsa_exception_fp_ieee_inexact 0
		.amdhsa_exception_int_div_zero 0
	.end_amdhsa_kernel
	.section	.text._ZL22rocblas_saxpy_2_kernelILi256E19rocblas_complex_numIfEPKS1_PKS3_PKPS1_EviT1_lT2_llT3_lli,"axG",@progbits,_ZL22rocblas_saxpy_2_kernelILi256E19rocblas_complex_numIfEPKS1_PKS3_PKPS1_EviT1_lT2_llT3_lli,comdat
.Lfunc_end100:
	.size	_ZL22rocblas_saxpy_2_kernelILi256E19rocblas_complex_numIfEPKS1_PKS3_PKPS1_EviT1_lT2_llT3_lli, .Lfunc_end100-_ZL22rocblas_saxpy_2_kernelILi256E19rocblas_complex_numIfEPKS1_PKS3_PKPS1_EviT1_lT2_llT3_lli
                                        ; -- End function
	.section	.AMDGPU.csdata,"",@progbits
; Kernel info:
; codeLenInByte = 528
; NumSgprs: 22
; NumVgprs: 15
; ScratchSize: 0
; MemoryBound: 0
; FloatMode: 240
; IeeeMode: 1
; LDSByteSize: 0 bytes/workgroup (compile time only)
; SGPRBlocks: 2
; VGPRBlocks: 1
; NumSGPRsForWavesPerEU: 22
; NumVGPRsForWavesPerEU: 15
; Occupancy: 16
; WaveLimiterHint : 1
; COMPUTE_PGM_RSRC2:SCRATCH_EN: 0
; COMPUTE_PGM_RSRC2:USER_SGPR: 14
; COMPUTE_PGM_RSRC2:TRAP_HANDLER: 0
; COMPUTE_PGM_RSRC2:TGID_X_EN: 1
; COMPUTE_PGM_RSRC2:TGID_Y_EN: 0
; COMPUTE_PGM_RSRC2:TGID_Z_EN: 1
; COMPUTE_PGM_RSRC2:TIDIG_COMP_CNT: 0
	.section	.text._ZL22rocblas_saxpy_2_kernelILi256E19rocblas_complex_numIfES1_PKPKS1_PKPS1_EviT1_lT2_llT3_lli,"axG",@progbits,_ZL22rocblas_saxpy_2_kernelILi256E19rocblas_complex_numIfES1_PKPKS1_PKPS1_EviT1_lT2_llT3_lli,comdat
	.globl	_ZL22rocblas_saxpy_2_kernelILi256E19rocblas_complex_numIfES1_PKPKS1_PKPS1_EviT1_lT2_llT3_lli ; -- Begin function _ZL22rocblas_saxpy_2_kernelILi256E19rocblas_complex_numIfES1_PKPKS1_PKPS1_EviT1_lT2_llT3_lli
	.p2align	8
	.type	_ZL22rocblas_saxpy_2_kernelILi256E19rocblas_complex_numIfES1_PKPKS1_PKPS1_EviT1_lT2_llT3_lli,@function
_ZL22rocblas_saxpy_2_kernelILi256E19rocblas_complex_numIfES1_PKPKS1_PKPS1_EviT1_lT2_llT3_lli: ; @_ZL22rocblas_saxpy_2_kernelILi256E19rocblas_complex_numIfES1_PKPKS1_PKPS1_EviT1_lT2_llT3_lli
; %bb.0:
	s_load_b128 s[4:7], s[0:1], 0x0
	s_waitcnt lgkmcnt(0)
	s_or_b32 s3, s5, s6
	s_delay_alu instid0(SALU_CYCLE_1) | instskip(NEXT) | instid1(SALU_CYCLE_1)
	s_bitset0_b32 s3, 31
	s_cmp_eq_u32 s3, 0
	s_mov_b32 s3, 0
	s_cbranch_scc1 .LBB101_5
; %bb.1:
	s_clause 0x1
	s_load_b128 s[8:11], s[0:1], 0x18
	s_load_b128 s[16:19], s[0:1], 0x30
	s_mov_b32 s2, s15
	v_dual_mov_b32 v3, 0 :: v_dual_lshlrev_b32 v0, 1, v0
	s_lshl_b64 s[12:13], s[2:3], 3
	s_delay_alu instid0(VALU_DEP_1) | instskip(NEXT) | instid1(VALU_DEP_1)
	v_lshl_or_b32 v2, s14, 9, v0
	v_lshlrev_b64 v[0:1], 3, v[2:3]
	s_waitcnt lgkmcnt(0)
	s_add_u32 s0, s8, s12
	s_addc_u32 s1, s9, s13
	s_lshl_b64 s[2:3], s[10:11], 3
	s_load_b64 s[0:1], s[0:1], 0x0
	s_waitcnt lgkmcnt(0)
	s_add_u32 s2, s0, s2
	s_addc_u32 s3, s1, s3
	s_add_u32 s0, s16, s12
	s_addc_u32 s1, s17, s13
	s_lshl_b64 s[8:9], s[18:19], 3
	s_load_b64 s[0:1], s[0:1], 0x0
	s_waitcnt lgkmcnt(0)
	s_add_u32 s7, s0, s8
	s_addc_u32 s8, s1, s9
	s_add_i32 s0, s4, -1
	s_mov_b32 s9, exec_lo
	s_ashr_i32 s1, s0, 31
	s_delay_alu instid0(SALU_CYCLE_1)
	v_cmpx_gt_i64_e64 s[0:1], v[2:3]
	s_cbranch_execz .LBB101_3
; %bb.2:
	v_add_co_u32 v8, vcc_lo, s2, v0
	v_add_co_ci_u32_e32 v9, vcc_lo, s3, v1, vcc_lo
	v_add_co_u32 v12, vcc_lo, s7, v0
	v_add_co_ci_u32_e32 v13, vcc_lo, s8, v1, vcc_lo
	global_load_b64 v[10:11], v[8:9], off
	global_load_b128 v[4:7], v[12:13], off
	s_waitcnt vmcnt(1)
	v_mul_f32_e32 v14, s6, v11
	v_mul_f32_e32 v11, s5, v11
	s_delay_alu instid0(VALU_DEP_1) | instskip(NEXT) | instid1(VALU_DEP_3)
	v_fmac_f32_e32 v11, s6, v10
	v_fma_f32 v14, v10, s5, -v14
	s_waitcnt vmcnt(0)
	s_delay_alu instid0(VALU_DEP_1)
	v_dual_add_f32 v5, v11, v5 :: v_dual_add_f32 v4, v14, v4
	global_store_b64 v[12:13], v[4:5], off
	global_load_b64 v[4:5], v[8:9], off offset:8
	s_waitcnt vmcnt(0)
	v_mul_f32_e32 v8, s6, v5
	v_mul_f32_e32 v5, s5, v5
	s_delay_alu instid0(VALU_DEP_1) | instskip(NEXT) | instid1(VALU_DEP_3)
	v_fmac_f32_e32 v5, s6, v4
	v_fma_f32 v8, v4, s5, -v8
	s_delay_alu instid0(VALU_DEP_1)
	v_dual_add_f32 v5, v5, v7 :: v_dual_add_f32 v4, v8, v6
	global_store_b64 v[12:13], v[4:5], off offset:8
.LBB101_3:
	s_or_b32 exec_lo, exec_lo, s9
	v_cmp_eq_u64_e32 vcc_lo, s[0:1], v[2:3]
	s_bitcmp1_b32 s4, 0
	s_cselect_b32 s0, -1, 0
	s_delay_alu instid0(SALU_CYCLE_1) | instskip(NEXT) | instid1(SALU_CYCLE_1)
	s_and_b32 s0, s0, vcc_lo
	s_and_saveexec_b32 s1, s0
	s_cbranch_execz .LBB101_5
; %bb.4:
	v_add_co_u32 v2, vcc_lo, s2, v0
	v_add_co_ci_u32_e32 v3, vcc_lo, s3, v1, vcc_lo
	v_add_co_u32 v0, vcc_lo, s7, v0
	v_add_co_ci_u32_e32 v1, vcc_lo, s8, v1, vcc_lo
	global_load_b64 v[2:3], v[2:3], off
	global_load_b64 v[4:5], v[0:1], off
	s_waitcnt vmcnt(1)
	v_mul_f32_e32 v6, s6, v3
	v_mul_f32_e32 v3, s5, v3
	s_delay_alu instid0(VALU_DEP_1) | instskip(NEXT) | instid1(VALU_DEP_3)
	v_fmac_f32_e32 v3, s6, v2
	v_fma_f32 v6, v2, s5, -v6
	s_waitcnt vmcnt(0)
	s_delay_alu instid0(VALU_DEP_1)
	v_dual_add_f32 v3, v3, v5 :: v_dual_add_f32 v2, v6, v4
	global_store_b64 v[0:1], v[2:3], off
.LBB101_5:
	s_nop 0
	s_sendmsg sendmsg(MSG_DEALLOC_VGPRS)
	s_endpgm
	.section	.rodata,"a",@progbits
	.p2align	6, 0x0
	.amdhsa_kernel _ZL22rocblas_saxpy_2_kernelILi256E19rocblas_complex_numIfES1_PKPKS1_PKPS1_EviT1_lT2_llT3_lli
		.amdhsa_group_segment_fixed_size 0
		.amdhsa_private_segment_fixed_size 0
		.amdhsa_kernarg_size 76
		.amdhsa_user_sgpr_count 14
		.amdhsa_user_sgpr_dispatch_ptr 0
		.amdhsa_user_sgpr_queue_ptr 0
		.amdhsa_user_sgpr_kernarg_segment_ptr 1
		.amdhsa_user_sgpr_dispatch_id 0
		.amdhsa_user_sgpr_private_segment_size 0
		.amdhsa_wavefront_size32 1
		.amdhsa_uses_dynamic_stack 0
		.amdhsa_enable_private_segment 0
		.amdhsa_system_sgpr_workgroup_id_x 1
		.amdhsa_system_sgpr_workgroup_id_y 0
		.amdhsa_system_sgpr_workgroup_id_z 1
		.amdhsa_system_sgpr_workgroup_info 0
		.amdhsa_system_vgpr_workitem_id 0
		.amdhsa_next_free_vgpr 15
		.amdhsa_next_free_sgpr 20
		.amdhsa_reserve_vcc 1
		.amdhsa_float_round_mode_32 0
		.amdhsa_float_round_mode_16_64 0
		.amdhsa_float_denorm_mode_32 3
		.amdhsa_float_denorm_mode_16_64 3
		.amdhsa_dx10_clamp 1
		.amdhsa_ieee_mode 1
		.amdhsa_fp16_overflow 0
		.amdhsa_workgroup_processor_mode 1
		.amdhsa_memory_ordered 1
		.amdhsa_forward_progress 0
		.amdhsa_shared_vgpr_count 0
		.amdhsa_exception_fp_ieee_invalid_op 0
		.amdhsa_exception_fp_denorm_src 0
		.amdhsa_exception_fp_ieee_div_zero 0
		.amdhsa_exception_fp_ieee_overflow 0
		.amdhsa_exception_fp_ieee_underflow 0
		.amdhsa_exception_fp_ieee_inexact 0
		.amdhsa_exception_int_div_zero 0
	.end_amdhsa_kernel
	.section	.text._ZL22rocblas_saxpy_2_kernelILi256E19rocblas_complex_numIfES1_PKPKS1_PKPS1_EviT1_lT2_llT3_lli,"axG",@progbits,_ZL22rocblas_saxpy_2_kernelILi256E19rocblas_complex_numIfES1_PKPKS1_PKPS1_EviT1_lT2_llT3_lli,comdat
.Lfunc_end101:
	.size	_ZL22rocblas_saxpy_2_kernelILi256E19rocblas_complex_numIfES1_PKPKS1_PKPS1_EviT1_lT2_llT3_lli, .Lfunc_end101-_ZL22rocblas_saxpy_2_kernelILi256E19rocblas_complex_numIfES1_PKPKS1_PKPS1_EviT1_lT2_llT3_lli
                                        ; -- End function
	.section	.AMDGPU.csdata,"",@progbits
; Kernel info:
; codeLenInByte = 472
; NumSgprs: 22
; NumVgprs: 15
; ScratchSize: 0
; MemoryBound: 0
; FloatMode: 240
; IeeeMode: 1
; LDSByteSize: 0 bytes/workgroup (compile time only)
; SGPRBlocks: 2
; VGPRBlocks: 1
; NumSGPRsForWavesPerEU: 22
; NumVGPRsForWavesPerEU: 15
; Occupancy: 16
; WaveLimiterHint : 1
; COMPUTE_PGM_RSRC2:SCRATCH_EN: 0
; COMPUTE_PGM_RSRC2:USER_SGPR: 14
; COMPUTE_PGM_RSRC2:TRAP_HANDLER: 0
; COMPUTE_PGM_RSRC2:TGID_X_EN: 1
; COMPUTE_PGM_RSRC2:TGID_Y_EN: 0
; COMPUTE_PGM_RSRC2:TGID_Z_EN: 1
; COMPUTE_PGM_RSRC2:TIDIG_COMP_CNT: 0
	.section	.text._ZL27rocblas_axpy_kernel_batchedIiLi128ELi8E19rocblas_complex_numIfEPKS1_PKS3_PKPS1_EviT3_lT4_lT_lT5_lSB_li,"axG",@progbits,_ZL27rocblas_axpy_kernel_batchedIiLi128ELi8E19rocblas_complex_numIfEPKS1_PKS3_PKPS1_EviT3_lT4_lT_lT5_lSB_li,comdat
	.globl	_ZL27rocblas_axpy_kernel_batchedIiLi128ELi8E19rocblas_complex_numIfEPKS1_PKS3_PKPS1_EviT3_lT4_lT_lT5_lSB_li ; -- Begin function _ZL27rocblas_axpy_kernel_batchedIiLi128ELi8E19rocblas_complex_numIfEPKS1_PKS3_PKPS1_EviT3_lT4_lT_lT5_lSB_li
	.p2align	8
	.type	_ZL27rocblas_axpy_kernel_batchedIiLi128ELi8E19rocblas_complex_numIfEPKS1_PKS3_PKPS1_EviT3_lT4_lT_lT5_lSB_li,@function
_ZL27rocblas_axpy_kernel_batchedIiLi128ELi8E19rocblas_complex_numIfEPKS1_PKS3_PKPS1_EviT3_lT4_lT_lT5_lSB_li: ; @_ZL27rocblas_axpy_kernel_batchedIiLi128ELi8E19rocblas_complex_numIfEPKS1_PKS3_PKPS1_EviT3_lT4_lT_lT5_lSB_li
; %bb.0:
	s_load_b32 s2, s[0:1], 0x0
	v_dual_mov_b32 v6, 0 :: v_dual_and_b32 v1, 0x3ff, v0
	s_delay_alu instid0(VALU_DEP_1)
	v_lshl_add_u32 v5, s14, 7, v1
	s_waitcnt lgkmcnt(0)
	s_ashr_i32 s3, s2, 31
	s_delay_alu instid0(VALU_DEP_1) | instid1(SALU_CYCLE_1)
	v_cmp_gt_i64_e32 vcc_lo, s[2:3], v[5:6]
	s_and_saveexec_b32 s2, vcc_lo
	s_cbranch_execz .LBB102_13
; %bb.1:
	s_clause 0x3
	s_load_b32 s13, s[0:1], 0x28
	s_load_b32 s14, s[0:1], 0x48
	s_load_b128 s[8:11], s[0:1], 0x38
	s_load_b32 s12, s[0:1], 0x58
	v_bfe_u32 v0, v0, 10, 10
	s_load_b256 s[0:7], s[0:1], 0x8
	s_waitcnt lgkmcnt(0)
	v_mad_u64_u32 v[1:2], null, s13, v5, 0
	v_mad_u64_u32 v[3:4], null, s14, v5, 0
	v_lshlrev_b32_e32 v9, 2, v0
	s_ashr_i32 s13, s13, 31
	s_ashr_i32 s14, s14, 31
	s_delay_alu instid0(VALU_DEP_3) | instskip(NEXT) | instid1(VALU_DEP_3)
	v_mov_b32_e32 v0, v2
	v_mov_b32_e32 v2, v4
	s_delay_alu instid0(VALU_DEP_2) | instskip(NEXT) | instid1(VALU_DEP_2)
	v_mad_u64_u32 v[6:7], null, s13, v5, v[0:1]
	v_mad_u64_u32 v[7:8], null, s14, v5, v[2:3]
	v_lshl_add_u32 v5, s15, 5, v9
	s_mov_b32 s13, exec_lo
	s_delay_alu instid0(VALU_DEP_3) | instskip(NEXT) | instid1(VALU_DEP_3)
	v_mov_b32_e32 v2, v6
	v_mov_b32_e32 v4, v7
	s_delay_alu instid0(VALU_DEP_3)
	v_cmpx_gt_u32_e64 s12, v5
	s_cbranch_execz .LBB102_4
; %bb.2:
	v_mad_u64_u32 v[6:7], null, v5, s2, 0
	s_delay_alu instid0(VALU_DEP_1) | instskip(NEXT) | instid1(VALU_DEP_1)
	v_mov_b32_e32 v0, v7
	v_mad_u64_u32 v[7:8], null, v5, s3, v[0:1]
	s_delay_alu instid0(VALU_DEP_1) | instskip(NEXT) | instid1(VALU_DEP_1)
	v_lshlrev_b64 v[6:7], 3, v[6:7]
	v_add_co_u32 v6, vcc_lo, s0, v6
	s_delay_alu instid0(VALU_DEP_2) | instskip(SKIP_3) | instid1(VALU_DEP_1)
	v_add_co_ci_u32_e32 v7, vcc_lo, s1, v7, vcc_lo
	global_load_b64 v[7:8], v[6:7], off
	s_waitcnt vmcnt(0)
	v_or_b32_e32 v0, v7, v8
	v_and_b32_e32 v0, 0x7fffffff, v0
	s_delay_alu instid0(VALU_DEP_1)
	v_cmp_ne_u32_e32 vcc_lo, 0, v0
	s_and_b32 exec_lo, exec_lo, vcc_lo
	s_cbranch_execz .LBB102_4
; %bb.3:
	v_mov_b32_e32 v6, 0
	v_lshlrev_b64 v[13:14], 3, v[1:2]
	s_lshl_b64 s[14:15], s[6:7], 3
	s_delay_alu instid0(VALU_DEP_2) | instskip(NEXT) | instid1(VALU_DEP_1)
	v_lshlrev_b64 v[9:10], 3, v[5:6]
	v_add_co_u32 v11, vcc_lo, s4, v9
	s_delay_alu instid0(VALU_DEP_2)
	v_add_co_ci_u32_e32 v12, vcc_lo, s5, v10, vcc_lo
	v_add_co_u32 v9, vcc_lo, s8, v9
	v_add_co_ci_u32_e32 v10, vcc_lo, s9, v10, vcc_lo
	global_load_b64 v[11:12], v[11:12], off
	global_load_b64 v[9:10], v[9:10], off
	s_waitcnt vmcnt(1)
	v_add_co_u32 v0, vcc_lo, v11, v13
	v_add_co_ci_u32_e32 v6, vcc_lo, v12, v14, vcc_lo
	v_lshlrev_b64 v[11:12], 3, v[3:4]
	s_delay_alu instid0(VALU_DEP_3) | instskip(NEXT) | instid1(VALU_DEP_3)
	v_add_co_u32 v13, vcc_lo, v0, s14
	v_add_co_ci_u32_e32 v14, vcc_lo, s15, v6, vcc_lo
	s_lshl_b64 s[14:15], s[10:11], 3
	s_waitcnt vmcnt(0)
	s_delay_alu instid0(VALU_DEP_3)
	v_add_co_u32 v0, vcc_lo, v9, v11
	v_add_co_ci_u32_e32 v6, vcc_lo, v10, v12, vcc_lo
	global_load_b64 v[9:10], v[13:14], off
	v_add_co_u32 v11, vcc_lo, v0, s14
	v_add_co_ci_u32_e32 v12, vcc_lo, s15, v6, vcc_lo
	global_load_b64 v[13:14], v[11:12], off
	s_waitcnt vmcnt(1)
	v_mul_f32_e32 v0, v10, v8
	v_mul_f32_e32 v10, v10, v7
	s_delay_alu instid0(VALU_DEP_2) | instskip(NEXT) | instid1(VALU_DEP_2)
	v_fma_f32 v0, v9, v7, -v0
	v_fmac_f32_e32 v10, v9, v8
	s_waitcnt vmcnt(0)
	s_delay_alu instid0(VALU_DEP_1)
	v_dual_add_f32 v6, v0, v13 :: v_dual_add_f32 v7, v10, v14
	global_store_b64 v[11:12], v[6:7], off
.LBB102_4:
	s_or_b32 exec_lo, exec_lo, s13
	v_or_b32_e32 v0, 1, v5
	s_mov_b32 s13, exec_lo
	s_delay_alu instid0(VALU_DEP_1)
	v_cmpx_gt_u32_e64 s12, v0
	s_cbranch_execz .LBB102_7
; %bb.5:
	v_mad_u64_u32 v[6:7], null, v0, s2, 0
	s_delay_alu instid0(VALU_DEP_1) | instskip(NEXT) | instid1(VALU_DEP_1)
	v_mad_u64_u32 v[8:9], null, v0, s3, v[7:8]
	v_mov_b32_e32 v7, v8
	s_delay_alu instid0(VALU_DEP_1) | instskip(NEXT) | instid1(VALU_DEP_1)
	v_lshlrev_b64 v[6:7], 3, v[6:7]
	v_add_co_u32 v6, vcc_lo, s0, v6
	s_delay_alu instid0(VALU_DEP_2) | instskip(SKIP_3) | instid1(VALU_DEP_1)
	v_add_co_ci_u32_e32 v7, vcc_lo, s1, v7, vcc_lo
	global_load_b64 v[7:8], v[6:7], off
	s_waitcnt vmcnt(0)
	v_or_b32_e32 v0, v7, v8
	v_and_b32_e32 v0, 0x7fffffff, v0
	s_delay_alu instid0(VALU_DEP_1)
	v_cmp_ne_u32_e32 vcc_lo, 0, v0
	s_and_b32 exec_lo, exec_lo, vcc_lo
	s_cbranch_execz .LBB102_7
; %bb.6:
	v_mov_b32_e32 v6, 0
	v_lshlrev_b64 v[13:14], 3, v[1:2]
	s_lshl_b64 s[14:15], s[6:7], 3
	s_delay_alu instid0(VALU_DEP_2) | instskip(NEXT) | instid1(VALU_DEP_1)
	v_lshlrev_b64 v[9:10], 3, v[5:6]
	v_add_co_u32 v11, vcc_lo, s4, v9
	s_delay_alu instid0(VALU_DEP_2)
	v_add_co_ci_u32_e32 v12, vcc_lo, s5, v10, vcc_lo
	v_add_co_u32 v9, vcc_lo, s8, v9
	v_add_co_ci_u32_e32 v10, vcc_lo, s9, v10, vcc_lo
	global_load_b64 v[11:12], v[11:12], off offset:8
	global_load_b64 v[9:10], v[9:10], off offset:8
	s_waitcnt vmcnt(1)
	v_add_co_u32 v0, vcc_lo, v11, v13
	v_add_co_ci_u32_e32 v6, vcc_lo, v12, v14, vcc_lo
	v_lshlrev_b64 v[11:12], 3, v[3:4]
	s_delay_alu instid0(VALU_DEP_3) | instskip(NEXT) | instid1(VALU_DEP_3)
	v_add_co_u32 v13, vcc_lo, v0, s14
	v_add_co_ci_u32_e32 v14, vcc_lo, s15, v6, vcc_lo
	s_lshl_b64 s[14:15], s[10:11], 3
	s_waitcnt vmcnt(0)
	s_delay_alu instid0(VALU_DEP_3)
	v_add_co_u32 v0, vcc_lo, v9, v11
	v_add_co_ci_u32_e32 v6, vcc_lo, v10, v12, vcc_lo
	global_load_b64 v[9:10], v[13:14], off
	v_add_co_u32 v11, vcc_lo, v0, s14
	v_add_co_ci_u32_e32 v12, vcc_lo, s15, v6, vcc_lo
	global_load_b64 v[13:14], v[11:12], off
	s_waitcnt vmcnt(1)
	v_mul_f32_e32 v0, v10, v8
	v_mul_f32_e32 v10, v10, v7
	s_delay_alu instid0(VALU_DEP_2) | instskip(NEXT) | instid1(VALU_DEP_2)
	v_fma_f32 v0, v9, v7, -v0
	v_fmac_f32_e32 v10, v9, v8
	s_waitcnt vmcnt(0)
	s_delay_alu instid0(VALU_DEP_1)
	v_dual_add_f32 v6, v0, v13 :: v_dual_add_f32 v7, v10, v14
	global_store_b64 v[11:12], v[6:7], off
.LBB102_7:
	s_or_b32 exec_lo, exec_lo, s13
	v_or_b32_e32 v0, 2, v5
	s_mov_b32 s13, exec_lo
	s_delay_alu instid0(VALU_DEP_1)
	v_cmpx_gt_u32_e64 s12, v0
	s_cbranch_execz .LBB102_10
; %bb.8:
	v_mad_u64_u32 v[6:7], null, v0, s2, 0
	s_delay_alu instid0(VALU_DEP_1) | instskip(NEXT) | instid1(VALU_DEP_1)
	v_mad_u64_u32 v[8:9], null, v0, s3, v[7:8]
	v_mov_b32_e32 v7, v8
	s_delay_alu instid0(VALU_DEP_1) | instskip(NEXT) | instid1(VALU_DEP_1)
	v_lshlrev_b64 v[6:7], 3, v[6:7]
	v_add_co_u32 v6, vcc_lo, s0, v6
	s_delay_alu instid0(VALU_DEP_2) | instskip(SKIP_3) | instid1(VALU_DEP_1)
	v_add_co_ci_u32_e32 v7, vcc_lo, s1, v7, vcc_lo
	global_load_b64 v[7:8], v[6:7], off
	s_waitcnt vmcnt(0)
	v_or_b32_e32 v0, v7, v8
	v_and_b32_e32 v0, 0x7fffffff, v0
	s_delay_alu instid0(VALU_DEP_1)
	v_cmp_ne_u32_e32 vcc_lo, 0, v0
	s_and_b32 exec_lo, exec_lo, vcc_lo
	s_cbranch_execz .LBB102_10
; %bb.9:
	v_mov_b32_e32 v6, 0
	v_lshlrev_b64 v[13:14], 3, v[1:2]
	s_lshl_b64 s[14:15], s[6:7], 3
	s_delay_alu instid0(VALU_DEP_2) | instskip(NEXT) | instid1(VALU_DEP_1)
	v_lshlrev_b64 v[9:10], 3, v[5:6]
	v_add_co_u32 v11, vcc_lo, s4, v9
	s_delay_alu instid0(VALU_DEP_2)
	v_add_co_ci_u32_e32 v12, vcc_lo, s5, v10, vcc_lo
	v_add_co_u32 v9, vcc_lo, s8, v9
	v_add_co_ci_u32_e32 v10, vcc_lo, s9, v10, vcc_lo
	global_load_b64 v[11:12], v[11:12], off offset:16
	global_load_b64 v[9:10], v[9:10], off offset:16
	s_waitcnt vmcnt(1)
	v_add_co_u32 v0, vcc_lo, v11, v13
	v_add_co_ci_u32_e32 v6, vcc_lo, v12, v14, vcc_lo
	v_lshlrev_b64 v[11:12], 3, v[3:4]
	s_delay_alu instid0(VALU_DEP_3) | instskip(NEXT) | instid1(VALU_DEP_3)
	v_add_co_u32 v13, vcc_lo, v0, s14
	v_add_co_ci_u32_e32 v14, vcc_lo, s15, v6, vcc_lo
	s_lshl_b64 s[14:15], s[10:11], 3
	s_waitcnt vmcnt(0)
	s_delay_alu instid0(VALU_DEP_3)
	v_add_co_u32 v0, vcc_lo, v9, v11
	v_add_co_ci_u32_e32 v6, vcc_lo, v10, v12, vcc_lo
	global_load_b64 v[9:10], v[13:14], off
	v_add_co_u32 v11, vcc_lo, v0, s14
	v_add_co_ci_u32_e32 v12, vcc_lo, s15, v6, vcc_lo
	global_load_b64 v[13:14], v[11:12], off
	s_waitcnt vmcnt(1)
	v_mul_f32_e32 v0, v10, v8
	v_mul_f32_e32 v10, v10, v7
	s_delay_alu instid0(VALU_DEP_2) | instskip(NEXT) | instid1(VALU_DEP_2)
	v_fma_f32 v0, v9, v7, -v0
	v_fmac_f32_e32 v10, v9, v8
	s_waitcnt vmcnt(0)
	s_delay_alu instid0(VALU_DEP_1)
	v_dual_add_f32 v6, v0, v13 :: v_dual_add_f32 v7, v10, v14
	global_store_b64 v[11:12], v[6:7], off
.LBB102_10:
	s_or_b32 exec_lo, exec_lo, s13
	v_or_b32_e32 v0, 3, v5
	s_delay_alu instid0(VALU_DEP_1)
	v_cmp_gt_u32_e32 vcc_lo, s12, v0
	s_and_b32 exec_lo, exec_lo, vcc_lo
	s_cbranch_execz .LBB102_13
; %bb.11:
	v_mad_u64_u32 v[6:7], null, v0, s2, 0
	s_delay_alu instid0(VALU_DEP_1) | instskip(NEXT) | instid1(VALU_DEP_1)
	v_mad_u64_u32 v[8:9], null, v0, s3, v[7:8]
	v_mov_b32_e32 v7, v8
	s_delay_alu instid0(VALU_DEP_1) | instskip(NEXT) | instid1(VALU_DEP_1)
	v_lshlrev_b64 v[6:7], 3, v[6:7]
	v_add_co_u32 v6, vcc_lo, s0, v6
	s_delay_alu instid0(VALU_DEP_2) | instskip(SKIP_3) | instid1(VALU_DEP_1)
	v_add_co_ci_u32_e32 v7, vcc_lo, s1, v7, vcc_lo
	global_load_b64 v[7:8], v[6:7], off
	s_waitcnt vmcnt(0)
	v_or_b32_e32 v0, v7, v8
	v_and_b32_e32 v0, 0x7fffffff, v0
	s_delay_alu instid0(VALU_DEP_1)
	v_cmp_ne_u32_e32 vcc_lo, 0, v0
	s_and_b32 exec_lo, exec_lo, vcc_lo
	s_cbranch_execz .LBB102_13
; %bb.12:
	v_mov_b32_e32 v6, 0
	v_lshlrev_b64 v[0:1], 3, v[1:2]
	s_lshl_b64 s[0:1], s[6:7], 3
	s_delay_alu instid0(VALU_DEP_2) | instskip(NEXT) | instid1(VALU_DEP_1)
	v_lshlrev_b64 v[5:6], 3, v[5:6]
	v_add_co_u32 v9, vcc_lo, s4, v5
	s_delay_alu instid0(VALU_DEP_2)
	v_add_co_ci_u32_e32 v10, vcc_lo, s5, v6, vcc_lo
	v_add_co_u32 v5, vcc_lo, s8, v5
	v_add_co_ci_u32_e32 v6, vcc_lo, s9, v6, vcc_lo
	global_load_b64 v[9:10], v[9:10], off offset:24
	global_load_b64 v[5:6], v[5:6], off offset:24
	s_waitcnt vmcnt(1)
	v_add_co_u32 v2, vcc_lo, v9, v0
	v_add_co_ci_u32_e32 v9, vcc_lo, v10, v1, vcc_lo
	v_lshlrev_b64 v[0:1], 3, v[3:4]
	s_delay_alu instid0(VALU_DEP_3) | instskip(NEXT) | instid1(VALU_DEP_3)
	v_add_co_u32 v2, vcc_lo, v2, s0
	v_add_co_ci_u32_e32 v3, vcc_lo, s1, v9, vcc_lo
	s_lshl_b64 s[0:1], s[10:11], 3
	s_waitcnt vmcnt(0)
	s_delay_alu instid0(VALU_DEP_3)
	v_add_co_u32 v4, vcc_lo, v5, v0
	v_add_co_ci_u32_e32 v5, vcc_lo, v6, v1, vcc_lo
	global_load_b64 v[0:1], v[2:3], off
	v_add_co_u32 v2, vcc_lo, v4, s0
	v_add_co_ci_u32_e32 v3, vcc_lo, s1, v5, vcc_lo
	global_load_b64 v[4:5], v[2:3], off
	s_waitcnt vmcnt(1)
	v_mul_f32_e32 v6, v1, v8
	v_mul_f32_e32 v1, v1, v7
	s_delay_alu instid0(VALU_DEP_2) | instskip(NEXT) | instid1(VALU_DEP_2)
	v_fma_f32 v6, v0, v7, -v6
	v_fmac_f32_e32 v1, v0, v8
	s_waitcnt vmcnt(0)
	s_delay_alu instid0(VALU_DEP_1)
	v_dual_add_f32 v0, v6, v4 :: v_dual_add_f32 v1, v1, v5
	global_store_b64 v[2:3], v[0:1], off
.LBB102_13:
	s_nop 0
	s_sendmsg sendmsg(MSG_DEALLOC_VGPRS)
	s_endpgm
	.section	.rodata,"a",@progbits
	.p2align	6, 0x0
	.amdhsa_kernel _ZL27rocblas_axpy_kernel_batchedIiLi128ELi8E19rocblas_complex_numIfEPKS1_PKS3_PKPS1_EviT3_lT4_lT_lT5_lSB_li
		.amdhsa_group_segment_fixed_size 0
		.amdhsa_private_segment_fixed_size 0
		.amdhsa_kernarg_size 92
		.amdhsa_user_sgpr_count 14
		.amdhsa_user_sgpr_dispatch_ptr 0
		.amdhsa_user_sgpr_queue_ptr 0
		.amdhsa_user_sgpr_kernarg_segment_ptr 1
		.amdhsa_user_sgpr_dispatch_id 0
		.amdhsa_user_sgpr_private_segment_size 0
		.amdhsa_wavefront_size32 1
		.amdhsa_uses_dynamic_stack 0
		.amdhsa_enable_private_segment 0
		.amdhsa_system_sgpr_workgroup_id_x 1
		.amdhsa_system_sgpr_workgroup_id_y 0
		.amdhsa_system_sgpr_workgroup_id_z 1
		.amdhsa_system_sgpr_workgroup_info 0
		.amdhsa_system_vgpr_workitem_id 1
		.amdhsa_next_free_vgpr 15
		.amdhsa_next_free_sgpr 16
		.amdhsa_reserve_vcc 1
		.amdhsa_float_round_mode_32 0
		.amdhsa_float_round_mode_16_64 0
		.amdhsa_float_denorm_mode_32 3
		.amdhsa_float_denorm_mode_16_64 3
		.amdhsa_dx10_clamp 1
		.amdhsa_ieee_mode 1
		.amdhsa_fp16_overflow 0
		.amdhsa_workgroup_processor_mode 1
		.amdhsa_memory_ordered 1
		.amdhsa_forward_progress 0
		.amdhsa_shared_vgpr_count 0
		.amdhsa_exception_fp_ieee_invalid_op 0
		.amdhsa_exception_fp_denorm_src 0
		.amdhsa_exception_fp_ieee_div_zero 0
		.amdhsa_exception_fp_ieee_overflow 0
		.amdhsa_exception_fp_ieee_underflow 0
		.amdhsa_exception_fp_ieee_inexact 0
		.amdhsa_exception_int_div_zero 0
	.end_amdhsa_kernel
	.section	.text._ZL27rocblas_axpy_kernel_batchedIiLi128ELi8E19rocblas_complex_numIfEPKS1_PKS3_PKPS1_EviT3_lT4_lT_lT5_lSB_li,"axG",@progbits,_ZL27rocblas_axpy_kernel_batchedIiLi128ELi8E19rocblas_complex_numIfEPKS1_PKS3_PKPS1_EviT3_lT4_lT_lT5_lSB_li,comdat
.Lfunc_end102:
	.size	_ZL27rocblas_axpy_kernel_batchedIiLi128ELi8E19rocblas_complex_numIfEPKS1_PKS3_PKPS1_EviT3_lT4_lT_lT5_lSB_li, .Lfunc_end102-_ZL27rocblas_axpy_kernel_batchedIiLi128ELi8E19rocblas_complex_numIfEPKS1_PKS3_PKPS1_EviT3_lT4_lT_lT5_lSB_li
                                        ; -- End function
	.section	.AMDGPU.csdata,"",@progbits
; Kernel info:
; codeLenInByte = 1536
; NumSgprs: 18
; NumVgprs: 15
; ScratchSize: 0
; MemoryBound: 0
; FloatMode: 240
; IeeeMode: 1
; LDSByteSize: 0 bytes/workgroup (compile time only)
; SGPRBlocks: 2
; VGPRBlocks: 1
; NumSGPRsForWavesPerEU: 18
; NumVGPRsForWavesPerEU: 15
; Occupancy: 16
; WaveLimiterHint : 1
; COMPUTE_PGM_RSRC2:SCRATCH_EN: 0
; COMPUTE_PGM_RSRC2:USER_SGPR: 14
; COMPUTE_PGM_RSRC2:TRAP_HANDLER: 0
; COMPUTE_PGM_RSRC2:TGID_X_EN: 1
; COMPUTE_PGM_RSRC2:TGID_Y_EN: 0
; COMPUTE_PGM_RSRC2:TGID_Z_EN: 1
; COMPUTE_PGM_RSRC2:TIDIG_COMP_CNT: 1
	.section	.text._ZL27rocblas_axpy_kernel_batchedIiLi128ELi8E19rocblas_complex_numIfES1_PKPKS1_PKPS1_EviT3_lT4_lT_lT5_lSB_li,"axG",@progbits,_ZL27rocblas_axpy_kernel_batchedIiLi128ELi8E19rocblas_complex_numIfES1_PKPKS1_PKPS1_EviT3_lT4_lT_lT5_lSB_li,comdat
	.globl	_ZL27rocblas_axpy_kernel_batchedIiLi128ELi8E19rocblas_complex_numIfES1_PKPKS1_PKPS1_EviT3_lT4_lT_lT5_lSB_li ; -- Begin function _ZL27rocblas_axpy_kernel_batchedIiLi128ELi8E19rocblas_complex_numIfES1_PKPKS1_PKPS1_EviT3_lT4_lT_lT5_lSB_li
	.p2align	8
	.type	_ZL27rocblas_axpy_kernel_batchedIiLi128ELi8E19rocblas_complex_numIfES1_PKPKS1_PKPS1_EviT3_lT4_lT_lT5_lSB_li,@function
_ZL27rocblas_axpy_kernel_batchedIiLi128ELi8E19rocblas_complex_numIfES1_PKPKS1_PKPS1_EviT3_lT4_lT_lT5_lSB_li: ; @_ZL27rocblas_axpy_kernel_batchedIiLi128ELi8E19rocblas_complex_numIfES1_PKPKS1_PKPS1_EviT3_lT4_lT_lT5_lSB_li
; %bb.0:
	s_load_b32 s2, s[0:1], 0x0
	v_dual_mov_b32 v2, 0 :: v_dual_and_b32 v1, 0x3ff, v0
	s_delay_alu instid0(VALU_DEP_1)
	v_lshl_add_u32 v1, s14, 7, v1
	s_waitcnt lgkmcnt(0)
	s_ashr_i32 s3, s2, 31
	s_delay_alu instid0(VALU_DEP_1) | instid1(SALU_CYCLE_1)
	v_cmp_gt_i64_e32 vcc_lo, s[2:3], v[1:2]
	s_and_saveexec_b32 s2, vcc_lo
	s_cbranch_execz .LBB103_9
; %bb.1:
	s_clause 0x4
	s_load_b32 s11, s[0:1], 0x28
	s_load_b32 s12, s[0:1], 0x48
	s_load_b128 s[4:7], s[0:1], 0x38
	s_load_b32 s10, s[0:1], 0x58
	s_load_b64 s[8:9], s[0:1], 0x4
	v_bfe_u32 v0, v0, 10, 10
	s_load_b128 s[0:3], s[0:1], 0x18
	s_waitcnt lgkmcnt(0)
	v_mad_u64_u32 v[2:3], null, s11, v1, 0
	v_mad_u64_u32 v[5:6], null, s12, v1, 0
	v_lshlrev_b32_e32 v4, 2, v0
	s_ashr_i32 s11, s11, 31
	s_ashr_i32 s12, s12, 31
	s_delay_alu instid0(VALU_DEP_2) | instskip(NEXT) | instid1(VALU_DEP_1)
	v_dual_mov_b32 v0, v3 :: v_dual_mov_b32 v3, v6
	v_mad_u64_u32 v[6:7], null, s11, v1, v[0:1]
	s_delay_alu instid0(VALU_DEP_2) | instskip(SKIP_3) | instid1(VALU_DEP_3)
	v_mad_u64_u32 v[7:8], null, s12, v1, v[3:4]
	s_or_b32 s11, s8, s9
	v_lshl_add_u32 v4, s15, 5, v4
	s_and_b32 s12, s11, 0x7fffffff
	v_mov_b32_e32 v3, v6
	s_cmp_eq_u32 s12, 0
	s_delay_alu instid0(VALU_DEP_3)
	v_mov_b32_e32 v6, v7
	v_cmp_gt_u32_e32 vcc_lo, s10, v4
	s_cselect_b32 s11, -1, 0
	s_cmp_lg_u32 s12, 0
	v_lshlrev_b64 v[2:3], 3, v[2:3]
	v_lshlrev_b64 v[0:1], 3, v[5:6]
	s_cselect_b32 s12, -1, 0
	s_delay_alu instid0(SALU_CYCLE_1) | instskip(NEXT) | instid1(SALU_CYCLE_1)
	s_and_b32 s13, vcc_lo, s12
	s_and_saveexec_b32 s12, s13
	s_cbranch_execz .LBB103_3
; %bb.2:
	v_mov_b32_e32 v5, 0
	s_lshl_b64 s[14:15], s[2:3], 3
	s_delay_alu instid0(VALU_DEP_1) | instskip(NEXT) | instid1(VALU_DEP_1)
	v_lshlrev_b64 v[5:6], 3, v[4:5]
	v_add_co_u32 v7, vcc_lo, s0, v5
	s_delay_alu instid0(VALU_DEP_2)
	v_add_co_ci_u32_e32 v8, vcc_lo, s1, v6, vcc_lo
	v_add_co_u32 v5, vcc_lo, s4, v5
	v_add_co_ci_u32_e32 v6, vcc_lo, s5, v6, vcc_lo
	global_load_b64 v[7:8], v[7:8], off
	global_load_b64 v[5:6], v[5:6], off
	s_waitcnt vmcnt(1)
	v_add_co_u32 v7, vcc_lo, v7, v2
	v_add_co_ci_u32_e32 v8, vcc_lo, v8, v3, vcc_lo
	s_delay_alu instid0(VALU_DEP_2) | instskip(NEXT) | instid1(VALU_DEP_2)
	v_add_co_u32 v7, vcc_lo, v7, s14
	v_add_co_ci_u32_e32 v8, vcc_lo, s15, v8, vcc_lo
	s_waitcnt vmcnt(0)
	v_add_co_u32 v9, vcc_lo, v5, v0
	v_add_co_ci_u32_e32 v10, vcc_lo, v6, v1, vcc_lo
	global_load_b64 v[5:6], v[7:8], off
	s_lshl_b64 s[14:15], s[6:7], 3
	s_delay_alu instid0(SALU_CYCLE_1)
	v_add_co_u32 v7, vcc_lo, v9, s14
	v_add_co_ci_u32_e32 v8, vcc_lo, s15, v10, vcc_lo
	global_load_b64 v[9:10], v[7:8], off
	s_waitcnt vmcnt(1)
	v_mul_f32_e32 v11, s9, v6
	v_mul_f32_e32 v6, s8, v6
	s_delay_alu instid0(VALU_DEP_1) | instskip(NEXT) | instid1(VALU_DEP_3)
	v_fmac_f32_e32 v6, s9, v5
	v_fma_f32 v11, v5, s8, -v11
	s_waitcnt vmcnt(0)
	s_delay_alu instid0(VALU_DEP_1)
	v_dual_add_f32 v6, v6, v10 :: v_dual_add_f32 v5, v11, v9
	global_store_b64 v[7:8], v[5:6], off
.LBB103_3:
	s_or_b32 exec_lo, exec_lo, s12
	v_or_b32_e32 v5, 1, v4
	s_xor_b32 s11, s11, -1
	s_delay_alu instid0(VALU_DEP_1) | instskip(SKIP_1) | instid1(SALU_CYCLE_1)
	v_cmp_gt_u32_e32 vcc_lo, s10, v5
	s_and_b32 s13, vcc_lo, s11
	s_and_saveexec_b32 s12, s13
	s_cbranch_execz .LBB103_5
; %bb.4:
	v_mov_b32_e32 v5, 0
	s_lshl_b64 s[14:15], s[2:3], 3
	s_delay_alu instid0(VALU_DEP_1) | instskip(NEXT) | instid1(VALU_DEP_1)
	v_lshlrev_b64 v[5:6], 3, v[4:5]
	v_add_co_u32 v7, vcc_lo, s0, v5
	s_delay_alu instid0(VALU_DEP_2)
	v_add_co_ci_u32_e32 v8, vcc_lo, s1, v6, vcc_lo
	v_add_co_u32 v5, vcc_lo, s4, v5
	v_add_co_ci_u32_e32 v6, vcc_lo, s5, v6, vcc_lo
	global_load_b64 v[7:8], v[7:8], off offset:8
	global_load_b64 v[5:6], v[5:6], off offset:8
	s_waitcnt vmcnt(1)
	v_add_co_u32 v7, vcc_lo, v7, v2
	v_add_co_ci_u32_e32 v8, vcc_lo, v8, v3, vcc_lo
	s_delay_alu instid0(VALU_DEP_2) | instskip(NEXT) | instid1(VALU_DEP_2)
	v_add_co_u32 v7, vcc_lo, v7, s14
	v_add_co_ci_u32_e32 v8, vcc_lo, s15, v8, vcc_lo
	s_waitcnt vmcnt(0)
	v_add_co_u32 v9, vcc_lo, v5, v0
	v_add_co_ci_u32_e32 v10, vcc_lo, v6, v1, vcc_lo
	global_load_b64 v[5:6], v[7:8], off
	s_lshl_b64 s[14:15], s[6:7], 3
	s_delay_alu instid0(SALU_CYCLE_1)
	v_add_co_u32 v7, vcc_lo, v9, s14
	v_add_co_ci_u32_e32 v8, vcc_lo, s15, v10, vcc_lo
	global_load_b64 v[9:10], v[7:8], off
	s_waitcnt vmcnt(1)
	v_mul_f32_e32 v11, s9, v6
	v_mul_f32_e32 v6, s8, v6
	s_delay_alu instid0(VALU_DEP_1) | instskip(NEXT) | instid1(VALU_DEP_3)
	v_fmac_f32_e32 v6, s9, v5
	v_fma_f32 v11, v5, s8, -v11
	s_waitcnt vmcnt(0)
	s_delay_alu instid0(VALU_DEP_1)
	v_dual_add_f32 v6, v6, v10 :: v_dual_add_f32 v5, v11, v9
	global_store_b64 v[7:8], v[5:6], off
.LBB103_5:
	s_or_b32 exec_lo, exec_lo, s12
	v_or_b32_e32 v5, 2, v4
	s_delay_alu instid0(VALU_DEP_1) | instskip(SKIP_1) | instid1(SALU_CYCLE_1)
	v_cmp_gt_u32_e32 vcc_lo, s10, v5
	s_and_b32 s13, vcc_lo, s11
	s_and_saveexec_b32 s12, s13
	s_cbranch_execz .LBB103_7
; %bb.6:
	v_mov_b32_e32 v5, 0
	s_lshl_b64 s[14:15], s[2:3], 3
	s_delay_alu instid0(VALU_DEP_1) | instskip(NEXT) | instid1(VALU_DEP_1)
	v_lshlrev_b64 v[5:6], 3, v[4:5]
	v_add_co_u32 v7, vcc_lo, s0, v5
	s_delay_alu instid0(VALU_DEP_2)
	v_add_co_ci_u32_e32 v8, vcc_lo, s1, v6, vcc_lo
	v_add_co_u32 v5, vcc_lo, s4, v5
	v_add_co_ci_u32_e32 v6, vcc_lo, s5, v6, vcc_lo
	global_load_b64 v[7:8], v[7:8], off offset:16
	global_load_b64 v[5:6], v[5:6], off offset:16
	s_waitcnt vmcnt(1)
	v_add_co_u32 v7, vcc_lo, v7, v2
	v_add_co_ci_u32_e32 v8, vcc_lo, v8, v3, vcc_lo
	s_delay_alu instid0(VALU_DEP_2) | instskip(NEXT) | instid1(VALU_DEP_2)
	v_add_co_u32 v7, vcc_lo, v7, s14
	v_add_co_ci_u32_e32 v8, vcc_lo, s15, v8, vcc_lo
	s_waitcnt vmcnt(0)
	v_add_co_u32 v9, vcc_lo, v5, v0
	v_add_co_ci_u32_e32 v10, vcc_lo, v6, v1, vcc_lo
	global_load_b64 v[5:6], v[7:8], off
	s_lshl_b64 s[14:15], s[6:7], 3
	s_delay_alu instid0(SALU_CYCLE_1)
	v_add_co_u32 v7, vcc_lo, v9, s14
	v_add_co_ci_u32_e32 v8, vcc_lo, s15, v10, vcc_lo
	global_load_b64 v[9:10], v[7:8], off
	s_waitcnt vmcnt(1)
	v_mul_f32_e32 v11, s9, v6
	v_mul_f32_e32 v6, s8, v6
	s_delay_alu instid0(VALU_DEP_1) | instskip(NEXT) | instid1(VALU_DEP_3)
	v_fmac_f32_e32 v6, s9, v5
	v_fma_f32 v11, v5, s8, -v11
	s_waitcnt vmcnt(0)
	s_delay_alu instid0(VALU_DEP_1)
	v_dual_add_f32 v6, v6, v10 :: v_dual_add_f32 v5, v11, v9
	global_store_b64 v[7:8], v[5:6], off
.LBB103_7:
	s_or_b32 exec_lo, exec_lo, s12
	v_or_b32_e32 v5, 3, v4
	s_delay_alu instid0(VALU_DEP_1) | instskip(SKIP_1) | instid1(SALU_CYCLE_1)
	v_cmp_gt_u32_e32 vcc_lo, s10, v5
	s_and_b32 s10, vcc_lo, s11
	s_and_b32 exec_lo, exec_lo, s10
	s_cbranch_execz .LBB103_9
; %bb.8:
	v_mov_b32_e32 v5, 0
	s_delay_alu instid0(VALU_DEP_1) | instskip(NEXT) | instid1(VALU_DEP_1)
	v_lshlrev_b64 v[4:5], 3, v[4:5]
	v_add_co_u32 v6, vcc_lo, s0, v4
	s_delay_alu instid0(VALU_DEP_2)
	v_add_co_ci_u32_e32 v7, vcc_lo, s1, v5, vcc_lo
	v_add_co_u32 v4, vcc_lo, s4, v4
	v_add_co_ci_u32_e32 v5, vcc_lo, s5, v5, vcc_lo
	global_load_b64 v[6:7], v[6:7], off offset:24
	s_lshl_b64 s[0:1], s[2:3], 3
	global_load_b64 v[4:5], v[4:5], off offset:24
	s_waitcnt vmcnt(1)
	v_add_co_u32 v2, vcc_lo, v6, v2
	v_add_co_ci_u32_e32 v3, vcc_lo, v7, v3, vcc_lo
	s_delay_alu instid0(VALU_DEP_2) | instskip(NEXT) | instid1(VALU_DEP_2)
	v_add_co_u32 v2, vcc_lo, v2, s0
	v_add_co_ci_u32_e32 v3, vcc_lo, s1, v3, vcc_lo
	s_waitcnt vmcnt(0)
	v_add_co_u32 v4, vcc_lo, v4, v0
	v_add_co_ci_u32_e32 v5, vcc_lo, v5, v1, vcc_lo
	global_load_b64 v[0:1], v[2:3], off
	s_lshl_b64 s[0:1], s[6:7], 3
	s_delay_alu instid0(SALU_CYCLE_1) | instskip(SKIP_4) | instid1(VALU_DEP_1)
	v_add_co_u32 v2, vcc_lo, v4, s0
	v_add_co_ci_u32_e32 v3, vcc_lo, s1, v5, vcc_lo
	global_load_b64 v[4:5], v[2:3], off
	s_waitcnt vmcnt(1)
	v_mul_f32_e32 v6, s9, v1
	v_fma_f32 v6, v0, s8, -v6
	v_mul_f32_e32 v1, s8, v1
	s_delay_alu instid0(VALU_DEP_1) | instskip(SKIP_1) | instid1(VALU_DEP_1)
	v_fmac_f32_e32 v1, s9, v0
	s_waitcnt vmcnt(0)
	v_dual_add_f32 v0, v6, v4 :: v_dual_add_f32 v1, v1, v5
	global_store_b64 v[2:3], v[0:1], off
.LBB103_9:
	s_nop 0
	s_sendmsg sendmsg(MSG_DEALLOC_VGPRS)
	s_endpgm
	.section	.rodata,"a",@progbits
	.p2align	6, 0x0
	.amdhsa_kernel _ZL27rocblas_axpy_kernel_batchedIiLi128ELi8E19rocblas_complex_numIfES1_PKPKS1_PKPS1_EviT3_lT4_lT_lT5_lSB_li
		.amdhsa_group_segment_fixed_size 0
		.amdhsa_private_segment_fixed_size 0
		.amdhsa_kernarg_size 92
		.amdhsa_user_sgpr_count 14
		.amdhsa_user_sgpr_dispatch_ptr 0
		.amdhsa_user_sgpr_queue_ptr 0
		.amdhsa_user_sgpr_kernarg_segment_ptr 1
		.amdhsa_user_sgpr_dispatch_id 0
		.amdhsa_user_sgpr_private_segment_size 0
		.amdhsa_wavefront_size32 1
		.amdhsa_uses_dynamic_stack 0
		.amdhsa_enable_private_segment 0
		.amdhsa_system_sgpr_workgroup_id_x 1
		.amdhsa_system_sgpr_workgroup_id_y 0
		.amdhsa_system_sgpr_workgroup_id_z 1
		.amdhsa_system_sgpr_workgroup_info 0
		.amdhsa_system_vgpr_workitem_id 1
		.amdhsa_next_free_vgpr 12
		.amdhsa_next_free_sgpr 16
		.amdhsa_reserve_vcc 1
		.amdhsa_float_round_mode_32 0
		.amdhsa_float_round_mode_16_64 0
		.amdhsa_float_denorm_mode_32 3
		.amdhsa_float_denorm_mode_16_64 3
		.amdhsa_dx10_clamp 1
		.amdhsa_ieee_mode 1
		.amdhsa_fp16_overflow 0
		.amdhsa_workgroup_processor_mode 1
		.amdhsa_memory_ordered 1
		.amdhsa_forward_progress 0
		.amdhsa_shared_vgpr_count 0
		.amdhsa_exception_fp_ieee_invalid_op 0
		.amdhsa_exception_fp_denorm_src 0
		.amdhsa_exception_fp_ieee_div_zero 0
		.amdhsa_exception_fp_ieee_overflow 0
		.amdhsa_exception_fp_ieee_underflow 0
		.amdhsa_exception_fp_ieee_inexact 0
		.amdhsa_exception_int_div_zero 0
	.end_amdhsa_kernel
	.section	.text._ZL27rocblas_axpy_kernel_batchedIiLi128ELi8E19rocblas_complex_numIfES1_PKPKS1_PKPS1_EviT3_lT4_lT_lT5_lSB_li,"axG",@progbits,_ZL27rocblas_axpy_kernel_batchedIiLi128ELi8E19rocblas_complex_numIfES1_PKPKS1_PKPS1_EviT3_lT4_lT_lT5_lSB_li,comdat
.Lfunc_end103:
	.size	_ZL27rocblas_axpy_kernel_batchedIiLi128ELi8E19rocblas_complex_numIfES1_PKPKS1_PKPS1_EviT3_lT4_lT_lT5_lSB_li, .Lfunc_end103-_ZL27rocblas_axpy_kernel_batchedIiLi128ELi8E19rocblas_complex_numIfES1_PKPKS1_PKPS1_EviT3_lT4_lT_lT5_lSB_li
                                        ; -- End function
	.section	.AMDGPU.csdata,"",@progbits
; Kernel info:
; codeLenInByte = 1160
; NumSgprs: 18
; NumVgprs: 12
; ScratchSize: 0
; MemoryBound: 0
; FloatMode: 240
; IeeeMode: 1
; LDSByteSize: 0 bytes/workgroup (compile time only)
; SGPRBlocks: 2
; VGPRBlocks: 1
; NumSGPRsForWavesPerEU: 18
; NumVGPRsForWavesPerEU: 12
; Occupancy: 16
; WaveLimiterHint : 1
; COMPUTE_PGM_RSRC2:SCRATCH_EN: 0
; COMPUTE_PGM_RSRC2:USER_SGPR: 14
; COMPUTE_PGM_RSRC2:TRAP_HANDLER: 0
; COMPUTE_PGM_RSRC2:TGID_X_EN: 1
; COMPUTE_PGM_RSRC2:TGID_Y_EN: 0
; COMPUTE_PGM_RSRC2:TGID_Z_EN: 1
; COMPUTE_PGM_RSRC2:TIDIG_COMP_CNT: 1
	.section	.text._ZL19rocblas_axpy_kernelIiLi256E19rocblas_complex_numIfEPKS1_PKS3_PKPS1_EviT2_lT3_lT_lT4_lSB_li,"axG",@progbits,_ZL19rocblas_axpy_kernelIiLi256E19rocblas_complex_numIfEPKS1_PKS3_PKPS1_EviT2_lT3_lT_lT4_lSB_li,comdat
	.globl	_ZL19rocblas_axpy_kernelIiLi256E19rocblas_complex_numIfEPKS1_PKS3_PKPS1_EviT2_lT3_lT_lT4_lSB_li ; -- Begin function _ZL19rocblas_axpy_kernelIiLi256E19rocblas_complex_numIfEPKS1_PKS3_PKPS1_EviT2_lT3_lT_lT4_lSB_li
	.p2align	8
	.type	_ZL19rocblas_axpy_kernelIiLi256E19rocblas_complex_numIfEPKS1_PKS3_PKPS1_EviT2_lT3_lT_lT4_lSB_li,@function
_ZL19rocblas_axpy_kernelIiLi256E19rocblas_complex_numIfEPKS1_PKS3_PKPS1_EviT2_lT3_lT_lT4_lSB_li: ; @_ZL19rocblas_axpy_kernelIiLi256E19rocblas_complex_numIfEPKS1_PKS3_PKPS1_EviT2_lT3_lT_lT4_lSB_li
; %bb.0:
	s_clause 0x1
	s_load_b128 s[8:11], s[0:1], 0x8
	s_load_b32 s6, s[0:1], 0x0
	v_mov_b32_e32 v1, 0
	v_lshl_or_b32 v0, s14, 8, v0
	s_waitcnt lgkmcnt(0)
	s_mul_i32 s3, s15, s11
	s_mul_hi_u32 s5, s15, s10
	s_mul_i32 s2, s15, s10
	s_add_i32 s3, s5, s3
	s_ashr_i32 s7, s6, 31
	s_lshl_b64 s[2:3], s[2:3], 3
	v_cmp_gt_i64_e32 vcc_lo, s[6:7], v[0:1]
	s_add_u32 s2, s8, s2
	s_addc_u32 s3, s9, s3
	s_load_b64 s[2:3], s[2:3], 0x0
	s_waitcnt lgkmcnt(0)
	s_or_b32 s5, s2, s3
	s_delay_alu instid0(SALU_CYCLE_1) | instskip(NEXT) | instid1(SALU_CYCLE_1)
	s_bitset0_b32 s5, 31
	s_cmp_lg_u32 s5, 0
	s_mov_b32 s5, 0
	s_cselect_b32 s6, -1, 0
	s_delay_alu instid0(SALU_CYCLE_1) | instskip(NEXT) | instid1(SALU_CYCLE_1)
	s_and_b32 s6, vcc_lo, s6
	s_and_saveexec_b32 s7, s6
	s_cbranch_execz .LBB104_2
; %bb.1:
	s_mov_b32 s4, s15
	s_clause 0x2
	s_load_b32 s14, s[0:1], 0x28
	s_load_b32 s15, s[0:1], 0x48
	s_load_b128 s[8:11], s[0:1], 0x18
	s_lshl_b64 s[12:13], s[4:5], 3
	s_waitcnt lgkmcnt(0)
	v_mad_u64_u32 v[1:2], null, s14, v0, 0
	v_mad_u64_u32 v[3:4], null, s15, v0, 0
	s_ashr_i32 s16, s14, 31
	s_ashr_i32 s17, s15, 31
	s_add_u32 s4, s8, s12
	s_addc_u32 s5, s9, s13
	s_load_b64 s[8:9], s[4:5], 0x0
	s_load_b128 s[4:7], s[0:1], 0x38
	s_delay_alu instid0(VALU_DEP_1) | instskip(SKIP_1) | instid1(VALU_DEP_1)
	v_mad_u64_u32 v[5:6], null, s16, v0, v[2:3]
	s_lshl_b64 s[0:1], s[10:11], 3
	v_mov_b32_e32 v2, v5
	v_mad_u64_u32 v[5:6], null, s17, v0, v[4:5]
	s_delay_alu instid0(VALU_DEP_2) | instskip(SKIP_3) | instid1(VALU_DEP_1)
	v_lshlrev_b64 v[0:1], 3, v[1:2]
	s_waitcnt lgkmcnt(0)
	s_add_u32 s8, s0, s8
	s_addc_u32 s9, s1, s9
	v_add_co_u32 v0, vcc_lo, s8, v0
	s_delay_alu instid0(VALU_DEP_2)
	v_add_co_ci_u32_e32 v1, vcc_lo, s9, v1, vcc_lo
	s_add_u32 s0, s4, s12
	s_addc_u32 s1, s5, s13
	s_lshl_b64 s[4:5], s[6:7], 3
	global_load_b64 v[0:1], v[0:1], off
	s_load_b64 s[0:1], s[0:1], 0x0
	s_waitcnt lgkmcnt(0)
	s_add_u32 s0, s4, s0
	s_addc_u32 s1, s5, s1
	s_waitcnt vmcnt(0)
	v_mul_f32_e32 v6, s3, v1
	v_dual_mul_f32 v1, s2, v1 :: v_dual_mov_b32 v4, v5
	s_delay_alu instid0(VALU_DEP_2) | instskip(NEXT) | instid1(VALU_DEP_2)
	v_fma_f32 v6, v0, s2, -v6
	v_fmac_f32_e32 v1, s3, v0
	s_delay_alu instid0(VALU_DEP_3) | instskip(NEXT) | instid1(VALU_DEP_1)
	v_lshlrev_b64 v[2:3], 3, v[3:4]
	v_add_co_u32 v2, vcc_lo, s0, v2
	s_delay_alu instid0(VALU_DEP_2)
	v_add_co_ci_u32_e32 v3, vcc_lo, s1, v3, vcc_lo
	global_load_b64 v[4:5], v[2:3], off
	s_waitcnt vmcnt(0)
	v_dual_add_f32 v0, v6, v4 :: v_dual_add_f32 v1, v1, v5
	global_store_b64 v[2:3], v[0:1], off
.LBB104_2:
	s_nop 0
	s_sendmsg sendmsg(MSG_DEALLOC_VGPRS)
	s_endpgm
	.section	.rodata,"a",@progbits
	.p2align	6, 0x0
	.amdhsa_kernel _ZL19rocblas_axpy_kernelIiLi256E19rocblas_complex_numIfEPKS1_PKS3_PKPS1_EviT2_lT3_lT_lT4_lSB_li
		.amdhsa_group_segment_fixed_size 0
		.amdhsa_private_segment_fixed_size 0
		.amdhsa_kernarg_size 92
		.amdhsa_user_sgpr_count 14
		.amdhsa_user_sgpr_dispatch_ptr 0
		.amdhsa_user_sgpr_queue_ptr 0
		.amdhsa_user_sgpr_kernarg_segment_ptr 1
		.amdhsa_user_sgpr_dispatch_id 0
		.amdhsa_user_sgpr_private_segment_size 0
		.amdhsa_wavefront_size32 1
		.amdhsa_uses_dynamic_stack 0
		.amdhsa_enable_private_segment 0
		.amdhsa_system_sgpr_workgroup_id_x 1
		.amdhsa_system_sgpr_workgroup_id_y 0
		.amdhsa_system_sgpr_workgroup_id_z 1
		.amdhsa_system_sgpr_workgroup_info 0
		.amdhsa_system_vgpr_workitem_id 0
		.amdhsa_next_free_vgpr 7
		.amdhsa_next_free_sgpr 18
		.amdhsa_reserve_vcc 1
		.amdhsa_float_round_mode_32 0
		.amdhsa_float_round_mode_16_64 0
		.amdhsa_float_denorm_mode_32 3
		.amdhsa_float_denorm_mode_16_64 3
		.amdhsa_dx10_clamp 1
		.amdhsa_ieee_mode 1
		.amdhsa_fp16_overflow 0
		.amdhsa_workgroup_processor_mode 1
		.amdhsa_memory_ordered 1
		.amdhsa_forward_progress 0
		.amdhsa_shared_vgpr_count 0
		.amdhsa_exception_fp_ieee_invalid_op 0
		.amdhsa_exception_fp_denorm_src 0
		.amdhsa_exception_fp_ieee_div_zero 0
		.amdhsa_exception_fp_ieee_overflow 0
		.amdhsa_exception_fp_ieee_underflow 0
		.amdhsa_exception_fp_ieee_inexact 0
		.amdhsa_exception_int_div_zero 0
	.end_amdhsa_kernel
	.section	.text._ZL19rocblas_axpy_kernelIiLi256E19rocblas_complex_numIfEPKS1_PKS3_PKPS1_EviT2_lT3_lT_lT4_lSB_li,"axG",@progbits,_ZL19rocblas_axpy_kernelIiLi256E19rocblas_complex_numIfEPKS1_PKS3_PKPS1_EviT2_lT3_lT_lT4_lSB_li,comdat
.Lfunc_end104:
	.size	_ZL19rocblas_axpy_kernelIiLi256E19rocblas_complex_numIfEPKS1_PKS3_PKPS1_EviT2_lT3_lT_lT4_lSB_li, .Lfunc_end104-_ZL19rocblas_axpy_kernelIiLi256E19rocblas_complex_numIfEPKS1_PKS3_PKPS1_EviT2_lT3_lT_lT4_lSB_li
                                        ; -- End function
	.section	.AMDGPU.csdata,"",@progbits
; Kernel info:
; codeLenInByte = 420
; NumSgprs: 20
; NumVgprs: 7
; ScratchSize: 0
; MemoryBound: 0
; FloatMode: 240
; IeeeMode: 1
; LDSByteSize: 0 bytes/workgroup (compile time only)
; SGPRBlocks: 2
; VGPRBlocks: 0
; NumSGPRsForWavesPerEU: 20
; NumVGPRsForWavesPerEU: 7
; Occupancy: 16
; WaveLimiterHint : 1
; COMPUTE_PGM_RSRC2:SCRATCH_EN: 0
; COMPUTE_PGM_RSRC2:USER_SGPR: 14
; COMPUTE_PGM_RSRC2:TRAP_HANDLER: 0
; COMPUTE_PGM_RSRC2:TGID_X_EN: 1
; COMPUTE_PGM_RSRC2:TGID_Y_EN: 0
; COMPUTE_PGM_RSRC2:TGID_Z_EN: 1
; COMPUTE_PGM_RSRC2:TIDIG_COMP_CNT: 0
	.section	.text._ZL19rocblas_axpy_kernelIiLi256E19rocblas_complex_numIfES1_PKPKS1_PKPS1_EviT2_lT3_lT_lT4_lSB_li,"axG",@progbits,_ZL19rocblas_axpy_kernelIiLi256E19rocblas_complex_numIfES1_PKPKS1_PKPS1_EviT2_lT3_lT_lT4_lSB_li,comdat
	.globl	_ZL19rocblas_axpy_kernelIiLi256E19rocblas_complex_numIfES1_PKPKS1_PKPS1_EviT2_lT3_lT_lT4_lSB_li ; -- Begin function _ZL19rocblas_axpy_kernelIiLi256E19rocblas_complex_numIfES1_PKPKS1_PKPS1_EviT2_lT3_lT_lT4_lSB_li
	.p2align	8
	.type	_ZL19rocblas_axpy_kernelIiLi256E19rocblas_complex_numIfES1_PKPKS1_PKPS1_EviT2_lT3_lT_lT4_lSB_li,@function
_ZL19rocblas_axpy_kernelIiLi256E19rocblas_complex_numIfES1_PKPKS1_PKPS1_EviT2_lT3_lT_lT4_lSB_li: ; @_ZL19rocblas_axpy_kernelIiLi256E19rocblas_complex_numIfES1_PKPKS1_PKPS1_EviT2_lT3_lT_lT4_lSB_li
; %bb.0:
	s_load_b128 s[4:7], s[0:1], 0x0
	v_mov_b32_e32 v1, 0
	v_lshl_or_b32 v0, s14, 8, v0
	s_waitcnt lgkmcnt(0)
	s_or_b32 s3, s5, s6
	s_mov_b32 s8, s4
	s_bitset0_b32 s3, 31
	s_delay_alu instid0(SALU_CYCLE_1) | instskip(SKIP_3) | instid1(SALU_CYCLE_1)
	s_cmp_lg_u32 s3, 0
	s_mov_b32 s3, 0
	s_cselect_b32 s7, -1, 0
	s_ashr_i32 s9, s4, 31
	v_cmp_gt_i64_e32 vcc_lo, s[8:9], v[0:1]
	s_and_b32 s4, vcc_lo, s7
	s_delay_alu instid0(SALU_CYCLE_1)
	s_and_saveexec_b32 s7, s4
	s_cbranch_execz .LBB105_2
; %bb.1:
	s_clause 0x2
	s_load_b32 s4, s[0:1], 0x28
	s_load_b32 s7, s[0:1], 0x48
	s_load_b128 s[8:11], s[0:1], 0x18
	s_mov_b32 s2, s15
	s_delay_alu instid0(SALU_CYCLE_1)
	s_lshl_b64 s[12:13], s[2:3], 3
	s_waitcnt lgkmcnt(0)
	v_mad_u64_u32 v[1:2], null, s4, v0, 0
	v_mad_u64_u32 v[3:4], null, s7, v0, 0
	s_ashr_i32 s14, s4, 31
	s_ashr_i32 s15, s7, 31
	s_add_u32 s2, s8, s12
	s_addc_u32 s3, s9, s13
	s_load_b64 s[8:9], s[2:3], 0x0
	s_load_b128 s[0:3], s[0:1], 0x38
	s_delay_alu instid0(VALU_DEP_1) | instskip(SKIP_1) | instid1(VALU_DEP_1)
	v_mad_u64_u32 v[5:6], null, s14, v0, v[2:3]
	s_lshl_b64 s[10:11], s[10:11], 3
	v_mov_b32_e32 v2, v5
	v_mad_u64_u32 v[5:6], null, s15, v0, v[4:5]
	s_delay_alu instid0(VALU_DEP_2) | instskip(SKIP_3) | instid1(VALU_DEP_1)
	v_lshlrev_b64 v[0:1], 3, v[1:2]
	s_waitcnt lgkmcnt(0)
	s_add_u32 s4, s10, s8
	s_addc_u32 s7, s11, s9
	v_add_co_u32 v0, vcc_lo, s4, v0
	s_delay_alu instid0(VALU_DEP_2)
	v_add_co_ci_u32_e32 v1, vcc_lo, s7, v1, vcc_lo
	s_add_u32 s0, s0, s12
	s_addc_u32 s1, s1, s13
	s_lshl_b64 s[2:3], s[2:3], 3
	global_load_b64 v[0:1], v[0:1], off
	s_load_b64 s[0:1], s[0:1], 0x0
	s_waitcnt lgkmcnt(0)
	s_add_u32 s0, s2, s0
	s_addc_u32 s1, s3, s1
	s_waitcnt vmcnt(0)
	v_mul_f32_e32 v6, s6, v1
	v_dual_mul_f32 v1, s5, v1 :: v_dual_mov_b32 v4, v5
	s_delay_alu instid0(VALU_DEP_2) | instskip(NEXT) | instid1(VALU_DEP_2)
	v_fma_f32 v6, v0, s5, -v6
	v_fmac_f32_e32 v1, s6, v0
	s_delay_alu instid0(VALU_DEP_3) | instskip(NEXT) | instid1(VALU_DEP_1)
	v_lshlrev_b64 v[2:3], 3, v[3:4]
	v_add_co_u32 v2, vcc_lo, s0, v2
	s_delay_alu instid0(VALU_DEP_2)
	v_add_co_ci_u32_e32 v3, vcc_lo, s1, v3, vcc_lo
	global_load_b64 v[4:5], v[2:3], off
	s_waitcnt vmcnt(0)
	v_dual_add_f32 v0, v6, v4 :: v_dual_add_f32 v1, v1, v5
	global_store_b64 v[2:3], v[0:1], off
.LBB105_2:
	s_nop 0
	s_sendmsg sendmsg(MSG_DEALLOC_VGPRS)
	s_endpgm
	.section	.rodata,"a",@progbits
	.p2align	6, 0x0
	.amdhsa_kernel _ZL19rocblas_axpy_kernelIiLi256E19rocblas_complex_numIfES1_PKPKS1_PKPS1_EviT2_lT3_lT_lT4_lSB_li
		.amdhsa_group_segment_fixed_size 0
		.amdhsa_private_segment_fixed_size 0
		.amdhsa_kernarg_size 92
		.amdhsa_user_sgpr_count 14
		.amdhsa_user_sgpr_dispatch_ptr 0
		.amdhsa_user_sgpr_queue_ptr 0
		.amdhsa_user_sgpr_kernarg_segment_ptr 1
		.amdhsa_user_sgpr_dispatch_id 0
		.amdhsa_user_sgpr_private_segment_size 0
		.amdhsa_wavefront_size32 1
		.amdhsa_uses_dynamic_stack 0
		.amdhsa_enable_private_segment 0
		.amdhsa_system_sgpr_workgroup_id_x 1
		.amdhsa_system_sgpr_workgroup_id_y 0
		.amdhsa_system_sgpr_workgroup_id_z 1
		.amdhsa_system_sgpr_workgroup_info 0
		.amdhsa_system_vgpr_workitem_id 0
		.amdhsa_next_free_vgpr 7
		.amdhsa_next_free_sgpr 16
		.amdhsa_reserve_vcc 1
		.amdhsa_float_round_mode_32 0
		.amdhsa_float_round_mode_16_64 0
		.amdhsa_float_denorm_mode_32 3
		.amdhsa_float_denorm_mode_16_64 3
		.amdhsa_dx10_clamp 1
		.amdhsa_ieee_mode 1
		.amdhsa_fp16_overflow 0
		.amdhsa_workgroup_processor_mode 1
		.amdhsa_memory_ordered 1
		.amdhsa_forward_progress 0
		.amdhsa_shared_vgpr_count 0
		.amdhsa_exception_fp_ieee_invalid_op 0
		.amdhsa_exception_fp_denorm_src 0
		.amdhsa_exception_fp_ieee_div_zero 0
		.amdhsa_exception_fp_ieee_overflow 0
		.amdhsa_exception_fp_ieee_underflow 0
		.amdhsa_exception_fp_ieee_inexact 0
		.amdhsa_exception_int_div_zero 0
	.end_amdhsa_kernel
	.section	.text._ZL19rocblas_axpy_kernelIiLi256E19rocblas_complex_numIfES1_PKPKS1_PKPS1_EviT2_lT3_lT_lT4_lSB_li,"axG",@progbits,_ZL19rocblas_axpy_kernelIiLi256E19rocblas_complex_numIfES1_PKPKS1_PKPS1_EviT2_lT3_lT_lT4_lSB_li,comdat
.Lfunc_end105:
	.size	_ZL19rocblas_axpy_kernelIiLi256E19rocblas_complex_numIfES1_PKPKS1_PKPS1_EviT2_lT3_lT_lT4_lSB_li, .Lfunc_end105-_ZL19rocblas_axpy_kernelIiLi256E19rocblas_complex_numIfES1_PKPKS1_PKPS1_EviT2_lT3_lT_lT4_lSB_li
                                        ; -- End function
	.section	.AMDGPU.csdata,"",@progbits
; Kernel info:
; codeLenInByte = 376
; NumSgprs: 18
; NumVgprs: 7
; ScratchSize: 0
; MemoryBound: 0
; FloatMode: 240
; IeeeMode: 1
; LDSByteSize: 0 bytes/workgroup (compile time only)
; SGPRBlocks: 2
; VGPRBlocks: 0
; NumSGPRsForWavesPerEU: 18
; NumVGPRsForWavesPerEU: 7
; Occupancy: 16
; WaveLimiterHint : 1
; COMPUTE_PGM_RSRC2:SCRATCH_EN: 0
; COMPUTE_PGM_RSRC2:USER_SGPR: 14
; COMPUTE_PGM_RSRC2:TRAP_HANDLER: 0
; COMPUTE_PGM_RSRC2:TGID_X_EN: 1
; COMPUTE_PGM_RSRC2:TGID_Y_EN: 0
; COMPUTE_PGM_RSRC2:TGID_Z_EN: 1
; COMPUTE_PGM_RSRC2:TIDIG_COMP_CNT: 0
	.section	.text._ZL19rocblas_axpy_kernelIlLi256E19rocblas_complex_numIfEPKS1_PKS3_PKPS1_EviT2_lT3_lT_lT4_lSB_li,"axG",@progbits,_ZL19rocblas_axpy_kernelIlLi256E19rocblas_complex_numIfEPKS1_PKS3_PKPS1_EviT2_lT3_lT_lT4_lSB_li,comdat
	.globl	_ZL19rocblas_axpy_kernelIlLi256E19rocblas_complex_numIfEPKS1_PKS3_PKPS1_EviT2_lT3_lT_lT4_lSB_li ; -- Begin function _ZL19rocblas_axpy_kernelIlLi256E19rocblas_complex_numIfEPKS1_PKS3_PKPS1_EviT2_lT3_lT_lT4_lSB_li
	.p2align	8
	.type	_ZL19rocblas_axpy_kernelIlLi256E19rocblas_complex_numIfEPKS1_PKS3_PKPS1_EviT2_lT3_lT_lT4_lSB_li,@function
_ZL19rocblas_axpy_kernelIlLi256E19rocblas_complex_numIfEPKS1_PKS3_PKPS1_EviT2_lT3_lT_lT4_lSB_li: ; @_ZL19rocblas_axpy_kernelIlLi256E19rocblas_complex_numIfEPKS1_PKS3_PKPS1_EviT2_lT3_lT_lT4_lSB_li
; %bb.0:
	s_clause 0x1
	s_load_b128 s[4:7], s[0:1], 0x8
	s_load_b32 s10, s[0:1], 0x0
	v_mov_b32_e32 v1, 0
	v_lshl_or_b32 v0, s14, 8, v0
	s_mov_b32 s9, 0
	s_waitcnt lgkmcnt(0)
	s_mul_i32 s3, s15, s7
	s_mul_hi_u32 s7, s15, s6
	s_mul_i32 s2, s15, s6
	s_add_i32 s3, s7, s3
	s_ashr_i32 s11, s10, 31
	s_lshl_b64 s[2:3], s[2:3], 3
	v_cmp_gt_i64_e32 vcc_lo, s[10:11], v[0:1]
	s_add_u32 s2, s4, s2
	s_addc_u32 s3, s5, s3
	s_load_b64 s[2:3], s[2:3], 0x0
	s_waitcnt lgkmcnt(0)
	s_or_b32 s4, s2, s3
	s_delay_alu instid0(SALU_CYCLE_1) | instskip(NEXT) | instid1(SALU_CYCLE_1)
	s_bitset0_b32 s4, 31
	s_cmp_lg_u32 s4, 0
	s_cselect_b32 s4, -1, 0
	s_delay_alu instid0(SALU_CYCLE_1) | instskip(NEXT) | instid1(SALU_CYCLE_1)
	s_and_b32 s4, vcc_lo, s4
	s_and_saveexec_b32 s5, s4
	s_cbranch_execz .LBB106_2
; %bb.1:
	s_mov_b32 s8, s15
	s_clause 0x2
	s_load_b64 s[10:11], s[0:1], 0x18
	s_load_b128 s[12:15], s[0:1], 0x20
	s_load_b128 s[4:7], s[0:1], 0x40
	s_lshl_b64 s[8:9], s[8:9], 3
	s_waitcnt lgkmcnt(0)
	s_add_u32 s10, s10, s8
	v_mad_u64_u32 v[1:2], null, v0, s14, 0
	v_mad_u64_u32 v[3:4], null, v0, s6, 0
	s_addc_u32 s11, s11, s9
	s_load_b64 s[10:11], s[10:11], 0x0
	s_load_b64 s[0:1], s[0:1], 0x38
	s_lshl_b64 s[12:13], s[12:13], 3
	s_delay_alu instid0(VALU_DEP_1) | instskip(NEXT) | instid1(VALU_DEP_1)
	v_mad_u64_u32 v[5:6], null, v0, s15, v[2:3]
	v_mov_b32_e32 v2, v5
	s_delay_alu instid0(VALU_DEP_3) | instskip(NEXT) | instid1(VALU_DEP_2)
	v_mad_u64_u32 v[5:6], null, v0, s7, v[4:5]
	v_lshlrev_b64 v[0:1], 3, v[1:2]
	s_waitcnt lgkmcnt(0)
	s_add_u32 s6, s12, s10
	s_addc_u32 s10, s13, s11
	s_add_u32 s0, s0, s8
	s_addc_u32 s1, s1, s9
	v_add_co_u32 v0, vcc_lo, s6, v0
	v_add_co_ci_u32_e32 v1, vcc_lo, s10, v1, vcc_lo
	s_load_b64 s[0:1], s[0:1], 0x0
	s_lshl_b64 s[4:5], s[4:5], 3
	global_load_b64 v[0:1], v[0:1], off
	s_waitcnt lgkmcnt(0)
	s_add_u32 s0, s4, s0
	s_addc_u32 s1, s5, s1
	s_waitcnt vmcnt(0)
	v_mul_f32_e32 v6, s3, v1
	v_dual_mul_f32 v1, s2, v1 :: v_dual_mov_b32 v4, v5
	s_delay_alu instid0(VALU_DEP_2) | instskip(NEXT) | instid1(VALU_DEP_2)
	v_fma_f32 v6, v0, s2, -v6
	v_fmac_f32_e32 v1, s3, v0
	s_delay_alu instid0(VALU_DEP_3) | instskip(NEXT) | instid1(VALU_DEP_1)
	v_lshlrev_b64 v[2:3], 3, v[3:4]
	v_add_co_u32 v2, vcc_lo, s0, v2
	s_delay_alu instid0(VALU_DEP_2)
	v_add_co_ci_u32_e32 v3, vcc_lo, s1, v3, vcc_lo
	global_load_b64 v[4:5], v[2:3], off
	s_waitcnt vmcnt(0)
	v_dual_add_f32 v0, v6, v4 :: v_dual_add_f32 v1, v1, v5
	global_store_b64 v[2:3], v[0:1], off
.LBB106_2:
	s_nop 0
	s_sendmsg sendmsg(MSG_DEALLOC_VGPRS)
	s_endpgm
	.section	.rodata,"a",@progbits
	.p2align	6, 0x0
	.amdhsa_kernel _ZL19rocblas_axpy_kernelIlLi256E19rocblas_complex_numIfEPKS1_PKS3_PKPS1_EviT2_lT3_lT_lT4_lSB_li
		.amdhsa_group_segment_fixed_size 0
		.amdhsa_private_segment_fixed_size 0
		.amdhsa_kernarg_size 92
		.amdhsa_user_sgpr_count 14
		.amdhsa_user_sgpr_dispatch_ptr 0
		.amdhsa_user_sgpr_queue_ptr 0
		.amdhsa_user_sgpr_kernarg_segment_ptr 1
		.amdhsa_user_sgpr_dispatch_id 0
		.amdhsa_user_sgpr_private_segment_size 0
		.amdhsa_wavefront_size32 1
		.amdhsa_uses_dynamic_stack 0
		.amdhsa_enable_private_segment 0
		.amdhsa_system_sgpr_workgroup_id_x 1
		.amdhsa_system_sgpr_workgroup_id_y 0
		.amdhsa_system_sgpr_workgroup_id_z 1
		.amdhsa_system_sgpr_workgroup_info 0
		.amdhsa_system_vgpr_workitem_id 0
		.amdhsa_next_free_vgpr 7
		.amdhsa_next_free_sgpr 16
		.amdhsa_reserve_vcc 1
		.amdhsa_float_round_mode_32 0
		.amdhsa_float_round_mode_16_64 0
		.amdhsa_float_denorm_mode_32 3
		.amdhsa_float_denorm_mode_16_64 3
		.amdhsa_dx10_clamp 1
		.amdhsa_ieee_mode 1
		.amdhsa_fp16_overflow 0
		.amdhsa_workgroup_processor_mode 1
		.amdhsa_memory_ordered 1
		.amdhsa_forward_progress 0
		.amdhsa_shared_vgpr_count 0
		.amdhsa_exception_fp_ieee_invalid_op 0
		.amdhsa_exception_fp_denorm_src 0
		.amdhsa_exception_fp_ieee_div_zero 0
		.amdhsa_exception_fp_ieee_overflow 0
		.amdhsa_exception_fp_ieee_underflow 0
		.amdhsa_exception_fp_ieee_inexact 0
		.amdhsa_exception_int_div_zero 0
	.end_amdhsa_kernel
	.section	.text._ZL19rocblas_axpy_kernelIlLi256E19rocblas_complex_numIfEPKS1_PKS3_PKPS1_EviT2_lT3_lT_lT4_lSB_li,"axG",@progbits,_ZL19rocblas_axpy_kernelIlLi256E19rocblas_complex_numIfEPKS1_PKS3_PKPS1_EviT2_lT3_lT_lT4_lSB_li,comdat
.Lfunc_end106:
	.size	_ZL19rocblas_axpy_kernelIlLi256E19rocblas_complex_numIfEPKS1_PKS3_PKPS1_EviT2_lT3_lT_lT4_lSB_li, .Lfunc_end106-_ZL19rocblas_axpy_kernelIlLi256E19rocblas_complex_numIfEPKS1_PKS3_PKPS1_EviT2_lT3_lT_lT4_lSB_li
                                        ; -- End function
	.section	.AMDGPU.csdata,"",@progbits
; Kernel info:
; codeLenInByte = 408
; NumSgprs: 18
; NumVgprs: 7
; ScratchSize: 0
; MemoryBound: 0
; FloatMode: 240
; IeeeMode: 1
; LDSByteSize: 0 bytes/workgroup (compile time only)
; SGPRBlocks: 2
; VGPRBlocks: 0
; NumSGPRsForWavesPerEU: 18
; NumVGPRsForWavesPerEU: 7
; Occupancy: 16
; WaveLimiterHint : 1
; COMPUTE_PGM_RSRC2:SCRATCH_EN: 0
; COMPUTE_PGM_RSRC2:USER_SGPR: 14
; COMPUTE_PGM_RSRC2:TRAP_HANDLER: 0
; COMPUTE_PGM_RSRC2:TGID_X_EN: 1
; COMPUTE_PGM_RSRC2:TGID_Y_EN: 0
; COMPUTE_PGM_RSRC2:TGID_Z_EN: 1
; COMPUTE_PGM_RSRC2:TIDIG_COMP_CNT: 0
	.section	.text._ZL19rocblas_axpy_kernelIlLi256E19rocblas_complex_numIfES1_PKPKS1_PKPS1_EviT2_lT3_lT_lT4_lSB_li,"axG",@progbits,_ZL19rocblas_axpy_kernelIlLi256E19rocblas_complex_numIfES1_PKPKS1_PKPS1_EviT2_lT3_lT_lT4_lSB_li,comdat
	.globl	_ZL19rocblas_axpy_kernelIlLi256E19rocblas_complex_numIfES1_PKPKS1_PKPS1_EviT2_lT3_lT_lT4_lSB_li ; -- Begin function _ZL19rocblas_axpy_kernelIlLi256E19rocblas_complex_numIfES1_PKPKS1_PKPS1_EviT2_lT3_lT_lT4_lSB_li
	.p2align	8
	.type	_ZL19rocblas_axpy_kernelIlLi256E19rocblas_complex_numIfES1_PKPKS1_PKPS1_EviT2_lT3_lT_lT4_lSB_li,@function
_ZL19rocblas_axpy_kernelIlLi256E19rocblas_complex_numIfES1_PKPKS1_PKPS1_EviT2_lT3_lT_lT4_lSB_li: ; @_ZL19rocblas_axpy_kernelIlLi256E19rocblas_complex_numIfES1_PKPKS1_PKPS1_EviT2_lT3_lT_lT4_lSB_li
; %bb.0:
	s_load_b128 s[4:7], s[0:1], 0x0
	v_mov_b32_e32 v1, 0
	v_lshl_or_b32 v0, s14, 8, v0
	s_waitcnt lgkmcnt(0)
	s_or_b32 s3, s5, s6
	s_mov_b32 s8, s4
	s_bitset0_b32 s3, 31
	s_delay_alu instid0(SALU_CYCLE_1) | instskip(SKIP_3) | instid1(SALU_CYCLE_1)
	s_cmp_lg_u32 s3, 0
	s_mov_b32 s3, 0
	s_cselect_b32 s7, -1, 0
	s_ashr_i32 s9, s4, 31
	v_cmp_gt_i64_e32 vcc_lo, s[8:9], v[0:1]
	s_and_b32 s4, vcc_lo, s7
	s_delay_alu instid0(SALU_CYCLE_1)
	s_and_saveexec_b32 s7, s4
	s_cbranch_execz .LBB107_2
; %bb.1:
	s_mov_b32 s2, s15
	s_clause 0x2
	s_load_b64 s[16:17], s[0:1], 0x18
	s_load_b128 s[12:15], s[0:1], 0x20
	s_load_b128 s[8:11], s[0:1], 0x40
	s_lshl_b64 s[2:3], s[2:3], 3
	s_waitcnt lgkmcnt(0)
	s_add_u32 s16, s16, s2
	v_mad_u64_u32 v[1:2], null, v0, s14, 0
	v_mad_u64_u32 v[3:4], null, v0, s10, 0
	s_addc_u32 s17, s17, s3
	s_load_b64 s[16:17], s[16:17], 0x0
	s_load_b64 s[0:1], s[0:1], 0x38
	s_lshl_b64 s[12:13], s[12:13], 3
	s_delay_alu instid0(VALU_DEP_1) | instskip(NEXT) | instid1(VALU_DEP_1)
	v_mad_u64_u32 v[5:6], null, v0, s15, v[2:3]
	v_mov_b32_e32 v2, v5
	s_delay_alu instid0(VALU_DEP_3) | instskip(NEXT) | instid1(VALU_DEP_2)
	v_mad_u64_u32 v[5:6], null, v0, s11, v[4:5]
	v_lshlrev_b64 v[0:1], 3, v[1:2]
	s_waitcnt lgkmcnt(0)
	s_add_u32 s4, s12, s16
	s_addc_u32 s7, s13, s17
	s_add_u32 s0, s0, s2
	s_addc_u32 s1, s1, s3
	v_add_co_u32 v0, vcc_lo, s4, v0
	v_add_co_ci_u32_e32 v1, vcc_lo, s7, v1, vcc_lo
	s_load_b64 s[0:1], s[0:1], 0x0
	s_lshl_b64 s[2:3], s[8:9], 3
	global_load_b64 v[0:1], v[0:1], off
	s_waitcnt lgkmcnt(0)
	s_add_u32 s0, s2, s0
	s_addc_u32 s1, s3, s1
	s_waitcnt vmcnt(0)
	v_mul_f32_e32 v6, s6, v1
	v_dual_mul_f32 v1, s5, v1 :: v_dual_mov_b32 v4, v5
	s_delay_alu instid0(VALU_DEP_2) | instskip(NEXT) | instid1(VALU_DEP_2)
	v_fma_f32 v6, v0, s5, -v6
	v_fmac_f32_e32 v1, s6, v0
	s_delay_alu instid0(VALU_DEP_3) | instskip(NEXT) | instid1(VALU_DEP_1)
	v_lshlrev_b64 v[2:3], 3, v[3:4]
	v_add_co_u32 v2, vcc_lo, s0, v2
	s_delay_alu instid0(VALU_DEP_2)
	v_add_co_ci_u32_e32 v3, vcc_lo, s1, v3, vcc_lo
	global_load_b64 v[4:5], v[2:3], off
	s_waitcnt vmcnt(0)
	v_dual_add_f32 v0, v6, v4 :: v_dual_add_f32 v1, v1, v5
	global_store_b64 v[2:3], v[0:1], off
.LBB107_2:
	s_nop 0
	s_sendmsg sendmsg(MSG_DEALLOC_VGPRS)
	s_endpgm
	.section	.rodata,"a",@progbits
	.p2align	6, 0x0
	.amdhsa_kernel _ZL19rocblas_axpy_kernelIlLi256E19rocblas_complex_numIfES1_PKPKS1_PKPS1_EviT2_lT3_lT_lT4_lSB_li
		.amdhsa_group_segment_fixed_size 0
		.amdhsa_private_segment_fixed_size 0
		.amdhsa_kernarg_size 92
		.amdhsa_user_sgpr_count 14
		.amdhsa_user_sgpr_dispatch_ptr 0
		.amdhsa_user_sgpr_queue_ptr 0
		.amdhsa_user_sgpr_kernarg_segment_ptr 1
		.amdhsa_user_sgpr_dispatch_id 0
		.amdhsa_user_sgpr_private_segment_size 0
		.amdhsa_wavefront_size32 1
		.amdhsa_uses_dynamic_stack 0
		.amdhsa_enable_private_segment 0
		.amdhsa_system_sgpr_workgroup_id_x 1
		.amdhsa_system_sgpr_workgroup_id_y 0
		.amdhsa_system_sgpr_workgroup_id_z 1
		.amdhsa_system_sgpr_workgroup_info 0
		.amdhsa_system_vgpr_workitem_id 0
		.amdhsa_next_free_vgpr 7
		.amdhsa_next_free_sgpr 18
		.amdhsa_reserve_vcc 1
		.amdhsa_float_round_mode_32 0
		.amdhsa_float_round_mode_16_64 0
		.amdhsa_float_denorm_mode_32 3
		.amdhsa_float_denorm_mode_16_64 3
		.amdhsa_dx10_clamp 1
		.amdhsa_ieee_mode 1
		.amdhsa_fp16_overflow 0
		.amdhsa_workgroup_processor_mode 1
		.amdhsa_memory_ordered 1
		.amdhsa_forward_progress 0
		.amdhsa_shared_vgpr_count 0
		.amdhsa_exception_fp_ieee_invalid_op 0
		.amdhsa_exception_fp_denorm_src 0
		.amdhsa_exception_fp_ieee_div_zero 0
		.amdhsa_exception_fp_ieee_overflow 0
		.amdhsa_exception_fp_ieee_underflow 0
		.amdhsa_exception_fp_ieee_inexact 0
		.amdhsa_exception_int_div_zero 0
	.end_amdhsa_kernel
	.section	.text._ZL19rocblas_axpy_kernelIlLi256E19rocblas_complex_numIfES1_PKPKS1_PKPS1_EviT2_lT3_lT_lT4_lSB_li,"axG",@progbits,_ZL19rocblas_axpy_kernelIlLi256E19rocblas_complex_numIfES1_PKPKS1_PKPS1_EviT2_lT3_lT_lT4_lSB_li,comdat
.Lfunc_end107:
	.size	_ZL19rocblas_axpy_kernelIlLi256E19rocblas_complex_numIfES1_PKPKS1_PKPS1_EviT2_lT3_lT_lT4_lSB_li, .Lfunc_end107-_ZL19rocblas_axpy_kernelIlLi256E19rocblas_complex_numIfES1_PKPKS1_PKPS1_EviT2_lT3_lT_lT4_lSB_li
                                        ; -- End function
	.section	.AMDGPU.csdata,"",@progbits
; Kernel info:
; codeLenInByte = 360
; NumSgprs: 20
; NumVgprs: 7
; ScratchSize: 0
; MemoryBound: 0
; FloatMode: 240
; IeeeMode: 1
; LDSByteSize: 0 bytes/workgroup (compile time only)
; SGPRBlocks: 2
; VGPRBlocks: 0
; NumSGPRsForWavesPerEU: 20
; NumVGPRsForWavesPerEU: 7
; Occupancy: 16
; WaveLimiterHint : 1
; COMPUTE_PGM_RSRC2:SCRATCH_EN: 0
; COMPUTE_PGM_RSRC2:USER_SGPR: 14
; COMPUTE_PGM_RSRC2:TRAP_HANDLER: 0
; COMPUTE_PGM_RSRC2:TGID_X_EN: 1
; COMPUTE_PGM_RSRC2:TGID_Y_EN: 0
; COMPUTE_PGM_RSRC2:TGID_Z_EN: 1
; COMPUTE_PGM_RSRC2:TIDIG_COMP_CNT: 0
	.section	.text._ZL26rocblas_haxpy_mlt_8_kernelILi256EPKDF16_PKPK19rocblas_complex_numIdEPKPS3_EviT0_lT1_llT2_lli,"axG",@progbits,_ZL26rocblas_haxpy_mlt_8_kernelILi256EPKDF16_PKPK19rocblas_complex_numIdEPKPS3_EviT0_lT1_llT2_lli,comdat
	.globl	_ZL26rocblas_haxpy_mlt_8_kernelILi256EPKDF16_PKPK19rocblas_complex_numIdEPKPS3_EviT0_lT1_llT2_lli ; -- Begin function _ZL26rocblas_haxpy_mlt_8_kernelILi256EPKDF16_PKPK19rocblas_complex_numIdEPKPS3_EviT0_lT1_llT2_lli
	.p2align	8
	.type	_ZL26rocblas_haxpy_mlt_8_kernelILi256EPKDF16_PKPK19rocblas_complex_numIdEPKPS3_EviT0_lT1_llT2_lli,@function
_ZL26rocblas_haxpy_mlt_8_kernelILi256EPKDF16_PKPK19rocblas_complex_numIdEPKPS3_EviT0_lT1_llT2_lli: ; @_ZL26rocblas_haxpy_mlt_8_kernelILi256EPKDF16_PKPK19rocblas_complex_numIdEPKPS3_EviT0_lT1_llT2_lli
; %bb.0:
	s_load_b256 s[4:11], s[0:1], 0x8
	v_mov_b32_e32 v1, 0
	s_waitcnt lgkmcnt(0)
	s_mul_i32 s3, s15, s7
	s_mul_hi_u32 s7, s15, s6
	s_mul_i32 s6, s15, s6
	s_add_i32 s7, s7, s3
	s_mov_b32 s3, 0
	s_lshl_b64 s[6:7], s[6:7], 1
	s_delay_alu instid0(SALU_CYCLE_1) | instskip(SKIP_4) | instid1(VALU_DEP_1)
	s_add_u32 s4, s4, s6
	s_addc_u32 s5, s5, s7
	global_load_u16 v2, v1, s[4:5]
	s_waitcnt vmcnt(0)
	v_and_b32_e32 v3, 0xffff, v2
	v_lshl_or_b32 v3, v2, 16, v3
	s_delay_alu instid0(VALU_DEP_1) | instskip(NEXT) | instid1(VALU_DEP_1)
	v_and_b32_e32 v3, 0x7fff, v3
	v_cmp_eq_u32_e32 vcc_lo, 0, v3
	s_cbranch_vccnz .LBB108_3
; %bb.1:
	s_load_b32 s4, s[0:1], 0x0
	v_lshl_or_b32 v0, s14, 8, v0
	s_delay_alu instid0(VALU_DEP_1)
	v_lshlrev_b64 v[0:1], 3, v[0:1]
	s_waitcnt lgkmcnt(0)
	s_ashr_i32 s5, s4, 31
	s_delay_alu instid0(VALU_DEP_1) | instid1(SALU_CYCLE_1)
	v_cmp_gt_i64_e32 vcc_lo, s[4:5], v[0:1]
	s_and_saveexec_b32 s4, vcc_lo
	s_cbranch_execz .LBB108_3
; %bb.2:
	s_mov_b32 s2, s15
	v_lshlrev_b64 v[0:1], 4, v[0:1]
	s_lshl_b64 s[4:5], s[2:3], 3
	s_delay_alu instid0(SALU_CYCLE_1)
	s_add_u32 s2, s8, s4
	s_addc_u32 s3, s9, s5
	s_lshl_b64 s[8:9], s[10:11], 4
	s_load_b64 s[6:7], s[2:3], 0x0
	s_load_b128 s[0:3], s[0:1], 0x30
	s_waitcnt lgkmcnt(0)
	s_add_u32 s6, s8, s6
	s_addc_u32 s7, s9, s7
	s_add_u32 s0, s0, s4
	s_addc_u32 s1, s1, s5
	s_lshl_b64 s[2:3], s[2:3], 4
	s_load_b64 s[0:1], s[0:1], 0x0
	v_add_co_u32 v3, vcc_lo, s6, v0
	v_add_co_ci_u32_e32 v4, vcc_lo, s7, v1, vcc_lo
	s_waitcnt lgkmcnt(0)
	s_add_u32 s0, s2, s0
	s_addc_u32 s1, s3, s1
	v_add_co_u32 v0, vcc_lo, s0, v0
	v_add_co_ci_u32_e32 v1, vcc_lo, s1, v1, vcc_lo
	global_load_b128 v[3:6], v[3:4], off
	global_load_b128 v[7:10], v[0:1], off
	s_waitcnt vmcnt(0)
	v_pk_fma_f16 v6, v2, v6, v10 op_sel_hi:[0,1,1]
	v_pk_fma_f16 v5, v2, v5, v9 op_sel_hi:[0,1,1]
	;; [unrolled: 1-line block ×4, first 2 shown]
	global_store_b128 v[0:1], v[3:6], off
.LBB108_3:
	s_nop 0
	s_sendmsg sendmsg(MSG_DEALLOC_VGPRS)
	s_endpgm
	.section	.rodata,"a",@progbits
	.p2align	6, 0x0
	.amdhsa_kernel _ZL26rocblas_haxpy_mlt_8_kernelILi256EPKDF16_PKPK19rocblas_complex_numIdEPKPS3_EviT0_lT1_llT2_lli
		.amdhsa_group_segment_fixed_size 0
		.amdhsa_private_segment_fixed_size 0
		.amdhsa_kernarg_size 76
		.amdhsa_user_sgpr_count 14
		.amdhsa_user_sgpr_dispatch_ptr 0
		.amdhsa_user_sgpr_queue_ptr 0
		.amdhsa_user_sgpr_kernarg_segment_ptr 1
		.amdhsa_user_sgpr_dispatch_id 0
		.amdhsa_user_sgpr_private_segment_size 0
		.amdhsa_wavefront_size32 1
		.amdhsa_uses_dynamic_stack 0
		.amdhsa_enable_private_segment 0
		.amdhsa_system_sgpr_workgroup_id_x 1
		.amdhsa_system_sgpr_workgroup_id_y 0
		.amdhsa_system_sgpr_workgroup_id_z 1
		.amdhsa_system_sgpr_workgroup_info 0
		.amdhsa_system_vgpr_workitem_id 0
		.amdhsa_next_free_vgpr 11
		.amdhsa_next_free_sgpr 16
		.amdhsa_reserve_vcc 1
		.amdhsa_float_round_mode_32 0
		.amdhsa_float_round_mode_16_64 0
		.amdhsa_float_denorm_mode_32 3
		.amdhsa_float_denorm_mode_16_64 3
		.amdhsa_dx10_clamp 1
		.amdhsa_ieee_mode 1
		.amdhsa_fp16_overflow 0
		.amdhsa_workgroup_processor_mode 1
		.amdhsa_memory_ordered 1
		.amdhsa_forward_progress 0
		.amdhsa_shared_vgpr_count 0
		.amdhsa_exception_fp_ieee_invalid_op 0
		.amdhsa_exception_fp_denorm_src 0
		.amdhsa_exception_fp_ieee_div_zero 0
		.amdhsa_exception_fp_ieee_overflow 0
		.amdhsa_exception_fp_ieee_underflow 0
		.amdhsa_exception_fp_ieee_inexact 0
		.amdhsa_exception_int_div_zero 0
	.end_amdhsa_kernel
	.section	.text._ZL26rocblas_haxpy_mlt_8_kernelILi256EPKDF16_PKPK19rocblas_complex_numIdEPKPS3_EviT0_lT1_llT2_lli,"axG",@progbits,_ZL26rocblas_haxpy_mlt_8_kernelILi256EPKDF16_PKPK19rocblas_complex_numIdEPKPS3_EviT0_lT1_llT2_lli,comdat
.Lfunc_end108:
	.size	_ZL26rocblas_haxpy_mlt_8_kernelILi256EPKDF16_PKPK19rocblas_complex_numIdEPKPS3_EviT0_lT1_llT2_lli, .Lfunc_end108-_ZL26rocblas_haxpy_mlt_8_kernelILi256EPKDF16_PKPK19rocblas_complex_numIdEPKPS3_EviT0_lT1_llT2_lli
                                        ; -- End function
	.section	.AMDGPU.csdata,"",@progbits
; Kernel info:
; codeLenInByte = 340
; NumSgprs: 18
; NumVgprs: 11
; ScratchSize: 0
; MemoryBound: 0
; FloatMode: 240
; IeeeMode: 1
; LDSByteSize: 0 bytes/workgroup (compile time only)
; SGPRBlocks: 2
; VGPRBlocks: 1
; NumSGPRsForWavesPerEU: 18
; NumVGPRsForWavesPerEU: 11
; Occupancy: 16
; WaveLimiterHint : 1
; COMPUTE_PGM_RSRC2:SCRATCH_EN: 0
; COMPUTE_PGM_RSRC2:USER_SGPR: 14
; COMPUTE_PGM_RSRC2:TRAP_HANDLER: 0
; COMPUTE_PGM_RSRC2:TGID_X_EN: 1
; COMPUTE_PGM_RSRC2:TGID_Y_EN: 0
; COMPUTE_PGM_RSRC2:TGID_Z_EN: 1
; COMPUTE_PGM_RSRC2:TIDIG_COMP_CNT: 0
	.section	.text._ZL26rocblas_haxpy_mod_8_kernelILi256EPK19rocblas_complex_numIdEPKS3_PKPS1_EviT0_lT1_llT2_lli,"axG",@progbits,_ZL26rocblas_haxpy_mod_8_kernelILi256EPK19rocblas_complex_numIdEPKS3_PKPS1_EviT0_lT1_llT2_lli,comdat
	.globl	_ZL26rocblas_haxpy_mod_8_kernelILi256EPK19rocblas_complex_numIdEPKS3_PKPS1_EviT0_lT1_llT2_lli ; -- Begin function _ZL26rocblas_haxpy_mod_8_kernelILi256EPK19rocblas_complex_numIdEPKS3_PKPS1_EviT0_lT1_llT2_lli
	.p2align	8
	.type	_ZL26rocblas_haxpy_mod_8_kernelILi256EPK19rocblas_complex_numIdEPKS3_PKPS1_EviT0_lT1_llT2_lli,@function
_ZL26rocblas_haxpy_mod_8_kernelILi256EPK19rocblas_complex_numIdEPKS3_PKPS1_EviT0_lT1_llT2_lli: ; @_ZL26rocblas_haxpy_mod_8_kernelILi256EPK19rocblas_complex_numIdEPKS3_PKPS1_EviT0_lT1_llT2_lli
; %bb.0:
	s_clause 0x1
	s_load_b256 s[4:11], s[0:1], 0x8
	s_load_b32 s12, s[0:1], 0x0
	s_mov_b32 s2, s15
	v_lshl_or_b32 v0, s14, 8, v0
	v_mov_b32_e32 v1, 0
	s_waitcnt lgkmcnt(0)
	s_mul_i32 s3, s15, s7
	s_mul_hi_u32 s7, s15, s6
	s_mul_i32 s6, s15, s6
	s_add_i32 s7, s7, s3
	s_ashr_i32 s13, s12, 31
	s_lshl_b64 s[6:7], s[6:7], 4
	v_cmp_gt_i64_e32 vcc_lo, s[12:13], v[0:1]
	s_add_u32 s4, s4, s6
	s_addc_u32 s5, s5, s7
	s_load_b128 s[4:7], s[4:5], 0x0
	s_waitcnt lgkmcnt(0)
	v_cmp_neq_f64_e64 s3, s[4:5], 0
	v_cmp_neq_f64_e64 s15, s[6:7], 0
	s_delay_alu instid0(VALU_DEP_1) | instskip(SKIP_2) | instid1(SALU_CYCLE_1)
	s_or_b32 s12, s3, s15
	s_mov_b32 s3, 0
	s_and_b32 s12, vcc_lo, s12
	s_and_saveexec_b32 s13, s12
	s_cbranch_execz .LBB109_2
; %bb.1:
	s_lshl_b64 s[12:13], s[2:3], 3
	v_lshlrev_b64 v[4:5], 4, v[0:1]
	s_add_u32 s2, s8, s12
	s_addc_u32 s3, s9, s13
	s_lshl_b64 s[8:9], s[10:11], 4
	s_load_b64 s[2:3], s[2:3], 0x0
	s_waitcnt lgkmcnt(0)
	s_add_u32 s2, s8, s2
	s_addc_u32 s3, s9, s3
	v_add_co_u32 v0, vcc_lo, s2, v4
	v_add_co_ci_u32_e32 v1, vcc_lo, s3, v5, vcc_lo
	s_load_b128 s[0:3], s[0:1], 0x30
	global_load_b128 v[0:3], v[0:1], off
	s_waitcnt lgkmcnt(0)
	s_add_u32 s0, s0, s12
	s_addc_u32 s1, s1, s13
	s_lshl_b64 s[2:3], s[2:3], 4
	s_load_b64 s[0:1], s[0:1], 0x0
	s_waitcnt lgkmcnt(0)
	s_add_u32 s0, s2, s0
	s_addc_u32 s1, s3, s1
	v_add_co_u32 v8, vcc_lo, s0, v4
	v_add_co_ci_u32_e32 v9, vcc_lo, s1, v5, vcc_lo
	global_load_b128 v[4:7], v[8:9], off
	s_waitcnt vmcnt(1)
	v_mul_f64 v[10:11], s[6:7], v[2:3]
	v_mul_f64 v[2:3], s[4:5], v[2:3]
	s_delay_alu instid0(VALU_DEP_2) | instskip(NEXT) | instid1(VALU_DEP_2)
	v_fma_f64 v[10:11], s[4:5], v[0:1], -v[10:11]
	v_fma_f64 v[2:3], s[6:7], v[0:1], v[2:3]
	s_waitcnt vmcnt(0)
	s_delay_alu instid0(VALU_DEP_2) | instskip(NEXT) | instid1(VALU_DEP_2)
	v_add_f64 v[0:1], v[4:5], v[10:11]
	v_add_f64 v[2:3], v[6:7], v[2:3]
	global_store_b128 v[8:9], v[0:3], off
.LBB109_2:
	s_nop 0
	s_sendmsg sendmsg(MSG_DEALLOC_VGPRS)
	s_endpgm
	.section	.rodata,"a",@progbits
	.p2align	6, 0x0
	.amdhsa_kernel _ZL26rocblas_haxpy_mod_8_kernelILi256EPK19rocblas_complex_numIdEPKS3_PKPS1_EviT0_lT1_llT2_lli
		.amdhsa_group_segment_fixed_size 0
		.amdhsa_private_segment_fixed_size 0
		.amdhsa_kernarg_size 76
		.amdhsa_user_sgpr_count 14
		.amdhsa_user_sgpr_dispatch_ptr 0
		.amdhsa_user_sgpr_queue_ptr 0
		.amdhsa_user_sgpr_kernarg_segment_ptr 1
		.amdhsa_user_sgpr_dispatch_id 0
		.amdhsa_user_sgpr_private_segment_size 0
		.amdhsa_wavefront_size32 1
		.amdhsa_uses_dynamic_stack 0
		.amdhsa_enable_private_segment 0
		.amdhsa_system_sgpr_workgroup_id_x 1
		.amdhsa_system_sgpr_workgroup_id_y 0
		.amdhsa_system_sgpr_workgroup_id_z 1
		.amdhsa_system_sgpr_workgroup_info 0
		.amdhsa_system_vgpr_workitem_id 0
		.amdhsa_next_free_vgpr 12
		.amdhsa_next_free_sgpr 16
		.amdhsa_reserve_vcc 1
		.amdhsa_float_round_mode_32 0
		.amdhsa_float_round_mode_16_64 0
		.amdhsa_float_denorm_mode_32 3
		.amdhsa_float_denorm_mode_16_64 3
		.amdhsa_dx10_clamp 1
		.amdhsa_ieee_mode 1
		.amdhsa_fp16_overflow 0
		.amdhsa_workgroup_processor_mode 1
		.amdhsa_memory_ordered 1
		.amdhsa_forward_progress 0
		.amdhsa_shared_vgpr_count 0
		.amdhsa_exception_fp_ieee_invalid_op 0
		.amdhsa_exception_fp_denorm_src 0
		.amdhsa_exception_fp_ieee_div_zero 0
		.amdhsa_exception_fp_ieee_overflow 0
		.amdhsa_exception_fp_ieee_underflow 0
		.amdhsa_exception_fp_ieee_inexact 0
		.amdhsa_exception_int_div_zero 0
	.end_amdhsa_kernel
	.section	.text._ZL26rocblas_haxpy_mod_8_kernelILi256EPK19rocblas_complex_numIdEPKS3_PKPS1_EviT0_lT1_llT2_lli,"axG",@progbits,_ZL26rocblas_haxpy_mod_8_kernelILi256EPK19rocblas_complex_numIdEPKS3_PKPS1_EviT0_lT1_llT2_lli,comdat
.Lfunc_end109:
	.size	_ZL26rocblas_haxpy_mod_8_kernelILi256EPK19rocblas_complex_numIdEPKS3_PKPS1_EviT0_lT1_llT2_lli, .Lfunc_end109-_ZL26rocblas_haxpy_mod_8_kernelILi256EPK19rocblas_complex_numIdEPKS3_PKPS1_EviT0_lT1_llT2_lli
                                        ; -- End function
	.section	.AMDGPU.csdata,"",@progbits
; Kernel info:
; codeLenInByte = 340
; NumSgprs: 18
; NumVgprs: 12
; ScratchSize: 0
; MemoryBound: 0
; FloatMode: 240
; IeeeMode: 1
; LDSByteSize: 0 bytes/workgroup (compile time only)
; SGPRBlocks: 2
; VGPRBlocks: 1
; NumSGPRsForWavesPerEU: 18
; NumVGPRsForWavesPerEU: 12
; Occupancy: 16
; WaveLimiterHint : 1
; COMPUTE_PGM_RSRC2:SCRATCH_EN: 0
; COMPUTE_PGM_RSRC2:USER_SGPR: 14
; COMPUTE_PGM_RSRC2:TRAP_HANDLER: 0
; COMPUTE_PGM_RSRC2:TGID_X_EN: 1
; COMPUTE_PGM_RSRC2:TGID_Y_EN: 0
; COMPUTE_PGM_RSRC2:TGID_Z_EN: 1
; COMPUTE_PGM_RSRC2:TIDIG_COMP_CNT: 0
	.section	.text._ZL26rocblas_haxpy_mlt_8_kernelILi256EDF16_PKPK19rocblas_complex_numIdEPKPS1_EviT0_lT1_llT2_lli,"axG",@progbits,_ZL26rocblas_haxpy_mlt_8_kernelILi256EDF16_PKPK19rocblas_complex_numIdEPKPS1_EviT0_lT1_llT2_lli,comdat
	.globl	_ZL26rocblas_haxpy_mlt_8_kernelILi256EDF16_PKPK19rocblas_complex_numIdEPKPS1_EviT0_lT1_llT2_lli ; -- Begin function _ZL26rocblas_haxpy_mlt_8_kernelILi256EDF16_PKPK19rocblas_complex_numIdEPKPS1_EviT0_lT1_llT2_lli
	.p2align	8
	.type	_ZL26rocblas_haxpy_mlt_8_kernelILi256EDF16_PKPK19rocblas_complex_numIdEPKPS1_EviT0_lT1_llT2_lli,@function
_ZL26rocblas_haxpy_mlt_8_kernelILi256EDF16_PKPK19rocblas_complex_numIdEPKPS1_EviT0_lT1_llT2_lli: ; @_ZL26rocblas_haxpy_mlt_8_kernelILi256EDF16_PKPK19rocblas_complex_numIdEPKPS1_EviT0_lT1_llT2_lli
; %bb.0:
	s_load_b64 s[2:3], s[0:1], 0x0
	s_waitcnt lgkmcnt(0)
	s_pack_ll_b32_b16 s5, s3, s3
	s_delay_alu instid0(SALU_CYCLE_1) | instskip(NEXT) | instid1(SALU_CYCLE_1)
	s_and_b32 s5, s5, 0x7fff
	s_cmp_eq_u32 s5, 0
	s_cbranch_scc1 .LBB110_3
; %bb.1:
	v_lshl_or_b32 v0, s14, 8, v0
	v_mov_b32_e32 v1, 0
	s_ashr_i32 s7, s2, 31
	s_mov_b32 s6, s2
	s_mov_b32 s2, exec_lo
	s_delay_alu instid0(VALU_DEP_1) | instskip(NEXT) | instid1(VALU_DEP_1)
	v_lshlrev_b64 v[0:1], 3, v[0:1]
	v_cmpx_gt_i64_e64 s[6:7], v[0:1]
	s_cbranch_execz .LBB110_3
; %bb.2:
	s_load_b128 s[8:11], s[0:1], 0x10
	s_mov_b32 s4, s15
	s_mov_b32 s5, 0
	v_lshlrev_b64 v[0:1], 4, v[0:1]
	s_lshl_b64 s[12:13], s[4:5], 3
	s_load_b128 s[4:7], s[0:1], 0x28
	s_waitcnt lgkmcnt(0)
	s_add_u32 s0, s8, s12
	s_addc_u32 s1, s9, s13
	s_lshl_b64 s[8:9], s[10:11], 4
	s_load_b64 s[0:1], s[0:1], 0x0
	s_waitcnt lgkmcnt(0)
	s_add_u32 s2, s8, s0
	s_addc_u32 s8, s9, s1
	s_add_u32 s0, s4, s12
	s_addc_u32 s1, s5, s13
	s_lshl_b64 s[4:5], s[6:7], 4
	s_load_b64 s[0:1], s[0:1], 0x0
	v_add_co_u32 v2, vcc_lo, s2, v0
	v_add_co_ci_u32_e32 v3, vcc_lo, s8, v1, vcc_lo
	s_waitcnt lgkmcnt(0)
	s_add_u32 s0, s4, s0
	s_addc_u32 s1, s5, s1
	v_add_co_u32 v8, vcc_lo, s0, v0
	v_add_co_ci_u32_e32 v9, vcc_lo, s1, v1, vcc_lo
	global_load_b128 v[0:3], v[2:3], off
	global_load_b128 v[4:7], v[8:9], off
	s_waitcnt vmcnt(0)
	v_pk_fma_f16 v3, s3, v3, v7 op_sel_hi:[0,1,1]
	v_pk_fma_f16 v2, s3, v2, v6 op_sel_hi:[0,1,1]
	;; [unrolled: 1-line block ×4, first 2 shown]
	global_store_b128 v[8:9], v[0:3], off
.LBB110_3:
	s_nop 0
	s_sendmsg sendmsg(MSG_DEALLOC_VGPRS)
	s_endpgm
	.section	.rodata,"a",@progbits
	.p2align	6, 0x0
	.amdhsa_kernel _ZL26rocblas_haxpy_mlt_8_kernelILi256EDF16_PKPK19rocblas_complex_numIdEPKPS1_EviT0_lT1_llT2_lli
		.amdhsa_group_segment_fixed_size 0
		.amdhsa_private_segment_fixed_size 0
		.amdhsa_kernarg_size 68
		.amdhsa_user_sgpr_count 14
		.amdhsa_user_sgpr_dispatch_ptr 0
		.amdhsa_user_sgpr_queue_ptr 0
		.amdhsa_user_sgpr_kernarg_segment_ptr 1
		.amdhsa_user_sgpr_dispatch_id 0
		.amdhsa_user_sgpr_private_segment_size 0
		.amdhsa_wavefront_size32 1
		.amdhsa_uses_dynamic_stack 0
		.amdhsa_enable_private_segment 0
		.amdhsa_system_sgpr_workgroup_id_x 1
		.amdhsa_system_sgpr_workgroup_id_y 0
		.amdhsa_system_sgpr_workgroup_id_z 1
		.amdhsa_system_sgpr_workgroup_info 0
		.amdhsa_system_vgpr_workitem_id 0
		.amdhsa_next_free_vgpr 10
		.amdhsa_next_free_sgpr 16
		.amdhsa_reserve_vcc 1
		.amdhsa_float_round_mode_32 0
		.amdhsa_float_round_mode_16_64 0
		.amdhsa_float_denorm_mode_32 3
		.amdhsa_float_denorm_mode_16_64 3
		.amdhsa_dx10_clamp 1
		.amdhsa_ieee_mode 1
		.amdhsa_fp16_overflow 0
		.amdhsa_workgroup_processor_mode 1
		.amdhsa_memory_ordered 1
		.amdhsa_forward_progress 0
		.amdhsa_shared_vgpr_count 0
		.amdhsa_exception_fp_ieee_invalid_op 0
		.amdhsa_exception_fp_denorm_src 0
		.amdhsa_exception_fp_ieee_div_zero 0
		.amdhsa_exception_fp_ieee_overflow 0
		.amdhsa_exception_fp_ieee_underflow 0
		.amdhsa_exception_fp_ieee_inexact 0
		.amdhsa_exception_int_div_zero 0
	.end_amdhsa_kernel
	.section	.text._ZL26rocblas_haxpy_mlt_8_kernelILi256EDF16_PKPK19rocblas_complex_numIdEPKPS1_EviT0_lT1_llT2_lli,"axG",@progbits,_ZL26rocblas_haxpy_mlt_8_kernelILi256EDF16_PKPK19rocblas_complex_numIdEPKPS1_EviT0_lT1_llT2_lli,comdat
.Lfunc_end110:
	.size	_ZL26rocblas_haxpy_mlt_8_kernelILi256EDF16_PKPK19rocblas_complex_numIdEPKPS1_EviT0_lT1_llT2_lli, .Lfunc_end110-_ZL26rocblas_haxpy_mlt_8_kernelILi256EDF16_PKPK19rocblas_complex_numIdEPKPS1_EviT0_lT1_llT2_lli
                                        ; -- End function
	.section	.AMDGPU.csdata,"",@progbits
; Kernel info:
; codeLenInByte = 284
; NumSgprs: 18
; NumVgprs: 10
; ScratchSize: 0
; MemoryBound: 0
; FloatMode: 240
; IeeeMode: 1
; LDSByteSize: 0 bytes/workgroup (compile time only)
; SGPRBlocks: 2
; VGPRBlocks: 1
; NumSGPRsForWavesPerEU: 18
; NumVGPRsForWavesPerEU: 10
; Occupancy: 16
; WaveLimiterHint : 1
; COMPUTE_PGM_RSRC2:SCRATCH_EN: 0
; COMPUTE_PGM_RSRC2:USER_SGPR: 14
; COMPUTE_PGM_RSRC2:TRAP_HANDLER: 0
; COMPUTE_PGM_RSRC2:TGID_X_EN: 1
; COMPUTE_PGM_RSRC2:TGID_Y_EN: 0
; COMPUTE_PGM_RSRC2:TGID_Z_EN: 1
; COMPUTE_PGM_RSRC2:TIDIG_COMP_CNT: 0
	.section	.text._ZL26rocblas_haxpy_mod_8_kernelILi256E19rocblas_complex_numIdEPKPKS1_PKPS1_EviT0_lT1_llT2_lli,"axG",@progbits,_ZL26rocblas_haxpy_mod_8_kernelILi256E19rocblas_complex_numIdEPKPKS1_PKPS1_EviT0_lT1_llT2_lli,comdat
	.globl	_ZL26rocblas_haxpy_mod_8_kernelILi256E19rocblas_complex_numIdEPKPKS1_PKPS1_EviT0_lT1_llT2_lli ; -- Begin function _ZL26rocblas_haxpy_mod_8_kernelILi256E19rocblas_complex_numIdEPKPKS1_PKPS1_EviT0_lT1_llT2_lli
	.p2align	8
	.type	_ZL26rocblas_haxpy_mod_8_kernelILi256E19rocblas_complex_numIdEPKPKS1_PKPS1_EviT0_lT1_llT2_lli,@function
_ZL26rocblas_haxpy_mod_8_kernelILi256E19rocblas_complex_numIdEPKPKS1_PKPS1_EviT0_lT1_llT2_lli: ; @_ZL26rocblas_haxpy_mod_8_kernelILi256E19rocblas_complex_numIdEPKPKS1_PKPS1_EviT0_lT1_llT2_lli
; %bb.0:
	s_clause 0x1
	s_load_b128 s[4:7], s[0:1], 0x8
	s_load_b32 s8, s[0:1], 0x0
	v_lshl_or_b32 v0, s14, 8, v0
	v_mov_b32_e32 v1, 0
	s_waitcnt lgkmcnt(0)
	v_cmp_neq_f64_e64 s3, s[4:5], 0
	v_cmp_neq_f64_e64 s10, s[6:7], 0
	s_ashr_i32 s9, s8, 31
	s_delay_alu instid0(SALU_CYCLE_1) | instskip(NEXT) | instid1(VALU_DEP_2)
	v_cmp_gt_i64_e32 vcc_lo, s[8:9], v[0:1]
	s_or_b32 s3, s3, s10
	s_delay_alu instid0(SALU_CYCLE_1) | instskip(NEXT) | instid1(SALU_CYCLE_1)
	s_and_b32 s3, vcc_lo, s3
	s_and_saveexec_b32 s8, s3
	s_cbranch_execz .LBB111_2
; %bb.1:
	s_load_b128 s[8:11], s[0:1], 0x20
	s_mov_b32 s2, s15
	s_mov_b32 s3, 0
	v_lshlrev_b64 v[4:5], 4, v[0:1]
	s_lshl_b64 s[12:13], s[2:3], 3
	s_load_b128 s[0:3], s[0:1], 0x38
	s_waitcnt lgkmcnt(0)
	s_add_u32 s8, s8, s12
	s_addc_u32 s9, s9, s13
	s_lshl_b64 s[10:11], s[10:11], 4
	s_load_b64 s[8:9], s[8:9], 0x0
	s_waitcnt lgkmcnt(0)
	s_add_u32 s8, s10, s8
	s_addc_u32 s9, s11, s9
	v_add_co_u32 v0, vcc_lo, s8, v4
	v_add_co_ci_u32_e32 v1, vcc_lo, s9, v5, vcc_lo
	s_add_u32 s0, s0, s12
	s_addc_u32 s1, s1, s13
	s_lshl_b64 s[2:3], s[2:3], 4
	global_load_b128 v[0:3], v[0:1], off
	s_load_b64 s[0:1], s[0:1], 0x0
	s_waitcnt lgkmcnt(0)
	s_add_u32 s0, s2, s0
	s_addc_u32 s1, s3, s1
	v_add_co_u32 v8, vcc_lo, s0, v4
	v_add_co_ci_u32_e32 v9, vcc_lo, s1, v5, vcc_lo
	global_load_b128 v[4:7], v[8:9], off
	s_waitcnt vmcnt(1)
	v_mul_f64 v[10:11], s[6:7], v[2:3]
	v_mul_f64 v[2:3], s[4:5], v[2:3]
	s_delay_alu instid0(VALU_DEP_2) | instskip(NEXT) | instid1(VALU_DEP_2)
	v_fma_f64 v[10:11], s[4:5], v[0:1], -v[10:11]
	v_fma_f64 v[2:3], s[6:7], v[0:1], v[2:3]
	s_waitcnt vmcnt(0)
	s_delay_alu instid0(VALU_DEP_2) | instskip(NEXT) | instid1(VALU_DEP_2)
	v_add_f64 v[0:1], v[4:5], v[10:11]
	v_add_f64 v[2:3], v[6:7], v[2:3]
	global_store_b128 v[8:9], v[0:3], off
.LBB111_2:
	s_nop 0
	s_sendmsg sendmsg(MSG_DEALLOC_VGPRS)
	s_endpgm
	.section	.rodata,"a",@progbits
	.p2align	6, 0x0
	.amdhsa_kernel _ZL26rocblas_haxpy_mod_8_kernelILi256E19rocblas_complex_numIdEPKPKS1_PKPS1_EviT0_lT1_llT2_lli
		.amdhsa_group_segment_fixed_size 0
		.amdhsa_private_segment_fixed_size 0
		.amdhsa_kernarg_size 84
		.amdhsa_user_sgpr_count 14
		.amdhsa_user_sgpr_dispatch_ptr 0
		.amdhsa_user_sgpr_queue_ptr 0
		.amdhsa_user_sgpr_kernarg_segment_ptr 1
		.amdhsa_user_sgpr_dispatch_id 0
		.amdhsa_user_sgpr_private_segment_size 0
		.amdhsa_wavefront_size32 1
		.amdhsa_uses_dynamic_stack 0
		.amdhsa_enable_private_segment 0
		.amdhsa_system_sgpr_workgroup_id_x 1
		.amdhsa_system_sgpr_workgroup_id_y 0
		.amdhsa_system_sgpr_workgroup_id_z 1
		.amdhsa_system_sgpr_workgroup_info 0
		.amdhsa_system_vgpr_workitem_id 0
		.amdhsa_next_free_vgpr 12
		.amdhsa_next_free_sgpr 16
		.amdhsa_reserve_vcc 1
		.amdhsa_float_round_mode_32 0
		.amdhsa_float_round_mode_16_64 0
		.amdhsa_float_denorm_mode_32 3
		.amdhsa_float_denorm_mode_16_64 3
		.amdhsa_dx10_clamp 1
		.amdhsa_ieee_mode 1
		.amdhsa_fp16_overflow 0
		.amdhsa_workgroup_processor_mode 1
		.amdhsa_memory_ordered 1
		.amdhsa_forward_progress 0
		.amdhsa_shared_vgpr_count 0
		.amdhsa_exception_fp_ieee_invalid_op 0
		.amdhsa_exception_fp_denorm_src 0
		.amdhsa_exception_fp_ieee_div_zero 0
		.amdhsa_exception_fp_ieee_overflow 0
		.amdhsa_exception_fp_ieee_underflow 0
		.amdhsa_exception_fp_ieee_inexact 0
		.amdhsa_exception_int_div_zero 0
	.end_amdhsa_kernel
	.section	.text._ZL26rocblas_haxpy_mod_8_kernelILi256E19rocblas_complex_numIdEPKPKS1_PKPS1_EviT0_lT1_llT2_lli,"axG",@progbits,_ZL26rocblas_haxpy_mod_8_kernelILi256E19rocblas_complex_numIdEPKPKS1_PKPS1_EviT0_lT1_llT2_lli,comdat
.Lfunc_end111:
	.size	_ZL26rocblas_haxpy_mod_8_kernelILi256E19rocblas_complex_numIdEPKPKS1_PKPS1_EviT0_lT1_llT2_lli, .Lfunc_end111-_ZL26rocblas_haxpy_mod_8_kernelILi256E19rocblas_complex_numIdEPKPKS1_PKPS1_EviT0_lT1_llT2_lli
                                        ; -- End function
	.section	.AMDGPU.csdata,"",@progbits
; Kernel info:
; codeLenInByte = 312
; NumSgprs: 18
; NumVgprs: 12
; ScratchSize: 0
; MemoryBound: 0
; FloatMode: 240
; IeeeMode: 1
; LDSByteSize: 0 bytes/workgroup (compile time only)
; SGPRBlocks: 2
; VGPRBlocks: 1
; NumSGPRsForWavesPerEU: 18
; NumVGPRsForWavesPerEU: 12
; Occupancy: 16
; WaveLimiterHint : 1
; COMPUTE_PGM_RSRC2:SCRATCH_EN: 0
; COMPUTE_PGM_RSRC2:USER_SGPR: 14
; COMPUTE_PGM_RSRC2:TRAP_HANDLER: 0
; COMPUTE_PGM_RSRC2:TGID_X_EN: 1
; COMPUTE_PGM_RSRC2:TGID_Y_EN: 0
; COMPUTE_PGM_RSRC2:TGID_Z_EN: 1
; COMPUTE_PGM_RSRC2:TIDIG_COMP_CNT: 0
	.section	.text._ZL22rocblas_saxpy_2_kernelILi256E19rocblas_complex_numIdEPKS1_PKS3_PKPS1_EviT1_lT2_llT3_lli,"axG",@progbits,_ZL22rocblas_saxpy_2_kernelILi256E19rocblas_complex_numIdEPKS1_PKS3_PKPS1_EviT1_lT2_llT3_lli,comdat
	.globl	_ZL22rocblas_saxpy_2_kernelILi256E19rocblas_complex_numIdEPKS1_PKS3_PKPS1_EviT1_lT2_llT3_lli ; -- Begin function _ZL22rocblas_saxpy_2_kernelILi256E19rocblas_complex_numIdEPKS1_PKS3_PKPS1_EviT1_lT2_llT3_lli
	.p2align	8
	.type	_ZL22rocblas_saxpy_2_kernelILi256E19rocblas_complex_numIdEPKS1_PKS3_PKPS1_EviT1_lT2_llT3_lli,@function
_ZL22rocblas_saxpy_2_kernelILi256E19rocblas_complex_numIdEPKS1_PKS3_PKPS1_EviT1_lT2_llT3_lli: ; @_ZL22rocblas_saxpy_2_kernelILi256E19rocblas_complex_numIdEPKS1_PKS3_PKPS1_EviT1_lT2_llT3_lli
; %bb.0:
	s_load_b128 s[4:7], s[0:1], 0x8
	s_waitcnt lgkmcnt(0)
	s_mul_i32 s3, s15, s7
	s_mul_hi_u32 s7, s15, s6
	s_mul_i32 s6, s15, s6
	s_add_i32 s7, s7, s3
	s_delay_alu instid0(SALU_CYCLE_1) | instskip(NEXT) | instid1(SALU_CYCLE_1)
	s_lshl_b64 s[6:7], s[6:7], 4
	s_add_u32 s4, s4, s6
	s_addc_u32 s5, s5, s7
	s_load_b128 s[4:7], s[4:5], 0x0
	s_waitcnt lgkmcnt(0)
	v_cmp_neq_f64_e64 s3, s[4:5], 0
	v_cmp_neq_f64_e64 s8, s[6:7], 0
	s_delay_alu instid0(VALU_DEP_1) | instskip(NEXT) | instid1(SALU_CYCLE_1)
	s_or_b32 s3, s3, s8
	s_and_not1_b32 vcc_lo, exec_lo, s3
	s_cbranch_vccnz .LBB112_5
; %bb.1:
	s_clause 0x1
	s_load_b128 s[16:19], s[0:1], 0x18
	s_load_b32 s8, s[0:1], 0x0
	s_mov_b32 s2, s15
	s_mov_b32 s3, 0
	v_dual_mov_b32 v3, 0 :: v_dual_lshlrev_b32 v0, 1, v0
	s_lshl_b64 s[10:11], s[2:3], 3
	s_delay_alu instid0(VALU_DEP_1) | instskip(NEXT) | instid1(VALU_DEP_1)
	v_lshl_or_b32 v2, s14, 9, v0
	v_lshlrev_b64 v[0:1], 4, v[2:3]
	s_waitcnt lgkmcnt(0)
	s_add_u32 s2, s16, s10
	s_addc_u32 s3, s17, s11
	s_load_b64 s[2:3], s[2:3], 0x0
	s_load_b128 s[20:23], s[0:1], 0x30
	s_lshl_b64 s[0:1], s[18:19], 4
	s_waitcnt lgkmcnt(0)
	s_add_u32 s2, s2, s0
	s_addc_u32 s3, s3, s1
	s_add_u32 s0, s20, s10
	s_addc_u32 s1, s21, s11
	s_lshl_b64 s[10:11], s[22:23], 4
	s_load_b64 s[0:1], s[0:1], 0x0
	s_waitcnt lgkmcnt(0)
	s_add_u32 s9, s0, s10
	s_addc_u32 s10, s1, s11
	s_add_i32 s0, s8, -1
	s_mov_b32 s11, exec_lo
	s_ashr_i32 s1, s0, 31
	s_delay_alu instid0(SALU_CYCLE_1)
	v_cmpx_gt_i64_e64 s[0:1], v[2:3]
	s_cbranch_execz .LBB112_3
; %bb.2:
	v_add_co_u32 v12, vcc_lo, s2, v0
	v_add_co_ci_u32_e32 v13, vcc_lo, s3, v1, vcc_lo
	v_add_co_u32 v14, vcc_lo, s9, v0
	v_add_co_ci_u32_e32 v15, vcc_lo, s10, v1, vcc_lo
	global_load_b128 v[4:7], v[12:13], off
	global_load_b128 v[8:11], v[14:15], off
	s_waitcnt vmcnt(1)
	v_mul_f64 v[16:17], s[6:7], v[6:7]
	v_mul_f64 v[6:7], s[4:5], v[6:7]
	s_delay_alu instid0(VALU_DEP_2) | instskip(NEXT) | instid1(VALU_DEP_2)
	v_fma_f64 v[16:17], s[4:5], v[4:5], -v[16:17]
	v_fma_f64 v[6:7], s[6:7], v[4:5], v[6:7]
	s_waitcnt vmcnt(0)
	s_delay_alu instid0(VALU_DEP_2) | instskip(NEXT) | instid1(VALU_DEP_2)
	v_add_f64 v[4:5], v[8:9], v[16:17]
	v_add_f64 v[6:7], v[10:11], v[6:7]
	global_store_b128 v[14:15], v[4:7], off
	global_load_b128 v[4:7], v[12:13], off offset:16
	global_load_b128 v[8:11], v[14:15], off offset:16
	s_waitcnt vmcnt(1)
	v_mul_f64 v[12:13], s[6:7], v[6:7]
	v_mul_f64 v[6:7], s[4:5], v[6:7]
	s_delay_alu instid0(VALU_DEP_2) | instskip(NEXT) | instid1(VALU_DEP_2)
	v_fma_f64 v[12:13], s[4:5], v[4:5], -v[12:13]
	v_fma_f64 v[6:7], s[6:7], v[4:5], v[6:7]
	s_waitcnt vmcnt(0)
	s_delay_alu instid0(VALU_DEP_2) | instskip(NEXT) | instid1(VALU_DEP_2)
	v_add_f64 v[4:5], v[8:9], v[12:13]
	v_add_f64 v[6:7], v[10:11], v[6:7]
	global_store_b128 v[14:15], v[4:7], off offset:16
.LBB112_3:
	s_or_b32 exec_lo, exec_lo, s11
	v_cmp_eq_u64_e32 vcc_lo, s[0:1], v[2:3]
	s_bitcmp1_b32 s8, 0
	s_cselect_b32 s0, -1, 0
	s_delay_alu instid0(SALU_CYCLE_1) | instskip(NEXT) | instid1(SALU_CYCLE_1)
	s_and_b32 s0, s0, vcc_lo
	s_and_saveexec_b32 s1, s0
	s_cbranch_execz .LBB112_5
; %bb.4:
	v_add_co_u32 v2, vcc_lo, s2, v0
	v_add_co_ci_u32_e32 v3, vcc_lo, s3, v1, vcc_lo
	v_add_co_u32 v10, vcc_lo, s9, v0
	v_add_co_ci_u32_e32 v11, vcc_lo, s10, v1, vcc_lo
	global_load_b128 v[2:5], v[2:3], off
	global_load_b128 v[6:9], v[10:11], off
	s_waitcnt vmcnt(1)
	v_mul_f64 v[0:1], s[6:7], v[4:5]
	v_mul_f64 v[4:5], s[4:5], v[4:5]
	s_delay_alu instid0(VALU_DEP_2) | instskip(NEXT) | instid1(VALU_DEP_2)
	v_fma_f64 v[0:1], s[4:5], v[2:3], -v[0:1]
	v_fma_f64 v[2:3], s[6:7], v[2:3], v[4:5]
	s_waitcnt vmcnt(0)
	s_delay_alu instid0(VALU_DEP_2) | instskip(NEXT) | instid1(VALU_DEP_2)
	v_add_f64 v[0:1], v[6:7], v[0:1]
	v_add_f64 v[2:3], v[8:9], v[2:3]
	global_store_b128 v[10:11], v[0:3], off
.LBB112_5:
	s_nop 0
	s_sendmsg sendmsg(MSG_DEALLOC_VGPRS)
	s_endpgm
	.section	.rodata,"a",@progbits
	.p2align	6, 0x0
	.amdhsa_kernel _ZL22rocblas_saxpy_2_kernelILi256E19rocblas_complex_numIdEPKS1_PKS3_PKPS1_EviT1_lT2_llT3_lli
		.amdhsa_group_segment_fixed_size 0
		.amdhsa_private_segment_fixed_size 0
		.amdhsa_kernarg_size 76
		.amdhsa_user_sgpr_count 14
		.amdhsa_user_sgpr_dispatch_ptr 0
		.amdhsa_user_sgpr_queue_ptr 0
		.amdhsa_user_sgpr_kernarg_segment_ptr 1
		.amdhsa_user_sgpr_dispatch_id 0
		.amdhsa_user_sgpr_private_segment_size 0
		.amdhsa_wavefront_size32 1
		.amdhsa_uses_dynamic_stack 0
		.amdhsa_enable_private_segment 0
		.amdhsa_system_sgpr_workgroup_id_x 1
		.amdhsa_system_sgpr_workgroup_id_y 0
		.amdhsa_system_sgpr_workgroup_id_z 1
		.amdhsa_system_sgpr_workgroup_info 0
		.amdhsa_system_vgpr_workitem_id 0
		.amdhsa_next_free_vgpr 18
		.amdhsa_next_free_sgpr 24
		.amdhsa_reserve_vcc 1
		.amdhsa_float_round_mode_32 0
		.amdhsa_float_round_mode_16_64 0
		.amdhsa_float_denorm_mode_32 3
		.amdhsa_float_denorm_mode_16_64 3
		.amdhsa_dx10_clamp 1
		.amdhsa_ieee_mode 1
		.amdhsa_fp16_overflow 0
		.amdhsa_workgroup_processor_mode 1
		.amdhsa_memory_ordered 1
		.amdhsa_forward_progress 0
		.amdhsa_shared_vgpr_count 0
		.amdhsa_exception_fp_ieee_invalid_op 0
		.amdhsa_exception_fp_denorm_src 0
		.amdhsa_exception_fp_ieee_div_zero 0
		.amdhsa_exception_fp_ieee_overflow 0
		.amdhsa_exception_fp_ieee_underflow 0
		.amdhsa_exception_fp_ieee_inexact 0
		.amdhsa_exception_int_div_zero 0
	.end_amdhsa_kernel
	.section	.text._ZL22rocblas_saxpy_2_kernelILi256E19rocblas_complex_numIdEPKS1_PKS3_PKPS1_EviT1_lT2_llT3_lli,"axG",@progbits,_ZL22rocblas_saxpy_2_kernelILi256E19rocblas_complex_numIdEPKS1_PKS3_PKPS1_EviT1_lT2_llT3_lli,comdat
.Lfunc_end112:
	.size	_ZL22rocblas_saxpy_2_kernelILi256E19rocblas_complex_numIdEPKS1_PKS3_PKPS1_EviT1_lT2_llT3_lli, .Lfunc_end112-_ZL22rocblas_saxpy_2_kernelILi256E19rocblas_complex_numIdEPKS1_PKS3_PKPS1_EviT1_lT2_llT3_lli
                                        ; -- End function
	.section	.AMDGPU.csdata,"",@progbits
; Kernel info:
; codeLenInByte = 608
; NumSgprs: 26
; NumVgprs: 18
; ScratchSize: 0
; MemoryBound: 0
; FloatMode: 240
; IeeeMode: 1
; LDSByteSize: 0 bytes/workgroup (compile time only)
; SGPRBlocks: 3
; VGPRBlocks: 2
; NumSGPRsForWavesPerEU: 26
; NumVGPRsForWavesPerEU: 18
; Occupancy: 16
; WaveLimiterHint : 1
; COMPUTE_PGM_RSRC2:SCRATCH_EN: 0
; COMPUTE_PGM_RSRC2:USER_SGPR: 14
; COMPUTE_PGM_RSRC2:TRAP_HANDLER: 0
; COMPUTE_PGM_RSRC2:TGID_X_EN: 1
; COMPUTE_PGM_RSRC2:TGID_Y_EN: 0
; COMPUTE_PGM_RSRC2:TGID_Z_EN: 1
; COMPUTE_PGM_RSRC2:TIDIG_COMP_CNT: 0
	.section	.text._ZL22rocblas_saxpy_2_kernelILi256E19rocblas_complex_numIdES1_PKPKS1_PKPS1_EviT1_lT2_llT3_lli,"axG",@progbits,_ZL22rocblas_saxpy_2_kernelILi256E19rocblas_complex_numIdES1_PKPKS1_PKPS1_EviT1_lT2_llT3_lli,comdat
	.globl	_ZL22rocblas_saxpy_2_kernelILi256E19rocblas_complex_numIdES1_PKPKS1_PKPS1_EviT1_lT2_llT3_lli ; -- Begin function _ZL22rocblas_saxpy_2_kernelILi256E19rocblas_complex_numIdES1_PKPKS1_PKPS1_EviT1_lT2_llT3_lli
	.p2align	8
	.type	_ZL22rocblas_saxpy_2_kernelILi256E19rocblas_complex_numIdES1_PKPKS1_PKPS1_EviT1_lT2_llT3_lli,@function
_ZL22rocblas_saxpy_2_kernelILi256E19rocblas_complex_numIdES1_PKPKS1_PKPS1_EviT1_lT2_llT3_lli: ; @_ZL22rocblas_saxpy_2_kernelILi256E19rocblas_complex_numIdES1_PKPKS1_PKPS1_EviT1_lT2_llT3_lli
; %bb.0:
	s_load_b128 s[4:7], s[0:1], 0x8
	s_waitcnt lgkmcnt(0)
	v_cmp_neq_f64_e64 s3, s[4:5], 0
	v_cmp_neq_f64_e64 s8, s[6:7], 0
	s_delay_alu instid0(VALU_DEP_1) | instskip(NEXT) | instid1(SALU_CYCLE_1)
	s_or_b32 s3, s3, s8
	s_and_not1_b32 vcc_lo, exec_lo, s3
	s_cbranch_vccnz .LBB113_5
; %bb.1:
	s_clause 0x1
	s_load_b128 s[16:19], s[0:1], 0x20
	s_load_b32 s8, s[0:1], 0x0
	s_mov_b32 s2, s15
	s_mov_b32 s3, 0
	v_dual_mov_b32 v3, 0 :: v_dual_lshlrev_b32 v0, 1, v0
	s_lshl_b64 s[10:11], s[2:3], 3
	s_delay_alu instid0(VALU_DEP_1) | instskip(NEXT) | instid1(VALU_DEP_1)
	v_lshl_or_b32 v2, s14, 9, v0
	v_lshlrev_b64 v[0:1], 4, v[2:3]
	s_waitcnt lgkmcnt(0)
	s_add_u32 s2, s16, s10
	s_addc_u32 s3, s17, s11
	s_load_b64 s[2:3], s[2:3], 0x0
	s_load_b128 s[20:23], s[0:1], 0x38
	s_lshl_b64 s[0:1], s[18:19], 4
	s_waitcnt lgkmcnt(0)
	s_add_u32 s2, s2, s0
	s_addc_u32 s3, s3, s1
	s_add_u32 s0, s20, s10
	s_addc_u32 s1, s21, s11
	s_lshl_b64 s[10:11], s[22:23], 4
	s_load_b64 s[0:1], s[0:1], 0x0
	s_waitcnt lgkmcnt(0)
	s_add_u32 s9, s0, s10
	s_addc_u32 s10, s1, s11
	s_add_i32 s0, s8, -1
	s_mov_b32 s11, exec_lo
	s_ashr_i32 s1, s0, 31
	s_delay_alu instid0(SALU_CYCLE_1)
	v_cmpx_gt_i64_e64 s[0:1], v[2:3]
	s_cbranch_execz .LBB113_3
; %bb.2:
	v_add_co_u32 v12, vcc_lo, s2, v0
	v_add_co_ci_u32_e32 v13, vcc_lo, s3, v1, vcc_lo
	v_add_co_u32 v14, vcc_lo, s9, v0
	v_add_co_ci_u32_e32 v15, vcc_lo, s10, v1, vcc_lo
	global_load_b128 v[4:7], v[12:13], off
	global_load_b128 v[8:11], v[14:15], off
	s_waitcnt vmcnt(1)
	v_mul_f64 v[16:17], s[6:7], v[6:7]
	v_mul_f64 v[6:7], s[4:5], v[6:7]
	s_delay_alu instid0(VALU_DEP_2) | instskip(NEXT) | instid1(VALU_DEP_2)
	v_fma_f64 v[16:17], s[4:5], v[4:5], -v[16:17]
	v_fma_f64 v[6:7], s[6:7], v[4:5], v[6:7]
	s_waitcnt vmcnt(0)
	s_delay_alu instid0(VALU_DEP_2) | instskip(NEXT) | instid1(VALU_DEP_2)
	v_add_f64 v[4:5], v[8:9], v[16:17]
	v_add_f64 v[6:7], v[10:11], v[6:7]
	global_store_b128 v[14:15], v[4:7], off
	global_load_b128 v[4:7], v[12:13], off offset:16
	global_load_b128 v[8:11], v[14:15], off offset:16
	s_waitcnt vmcnt(1)
	v_mul_f64 v[12:13], s[6:7], v[6:7]
	v_mul_f64 v[6:7], s[4:5], v[6:7]
	s_delay_alu instid0(VALU_DEP_2) | instskip(NEXT) | instid1(VALU_DEP_2)
	v_fma_f64 v[12:13], s[4:5], v[4:5], -v[12:13]
	v_fma_f64 v[6:7], s[6:7], v[4:5], v[6:7]
	s_waitcnt vmcnt(0)
	s_delay_alu instid0(VALU_DEP_2) | instskip(NEXT) | instid1(VALU_DEP_2)
	v_add_f64 v[4:5], v[8:9], v[12:13]
	v_add_f64 v[6:7], v[10:11], v[6:7]
	global_store_b128 v[14:15], v[4:7], off offset:16
.LBB113_3:
	s_or_b32 exec_lo, exec_lo, s11
	v_cmp_eq_u64_e32 vcc_lo, s[0:1], v[2:3]
	s_bitcmp1_b32 s8, 0
	s_cselect_b32 s0, -1, 0
	s_delay_alu instid0(SALU_CYCLE_1) | instskip(NEXT) | instid1(SALU_CYCLE_1)
	s_and_b32 s0, s0, vcc_lo
	s_and_saveexec_b32 s1, s0
	s_cbranch_execz .LBB113_5
; %bb.4:
	v_add_co_u32 v2, vcc_lo, s2, v0
	v_add_co_ci_u32_e32 v3, vcc_lo, s3, v1, vcc_lo
	v_add_co_u32 v10, vcc_lo, s9, v0
	v_add_co_ci_u32_e32 v11, vcc_lo, s10, v1, vcc_lo
	global_load_b128 v[2:5], v[2:3], off
	global_load_b128 v[6:9], v[10:11], off
	s_waitcnt vmcnt(1)
	v_mul_f64 v[0:1], s[6:7], v[4:5]
	v_mul_f64 v[4:5], s[4:5], v[4:5]
	s_delay_alu instid0(VALU_DEP_2) | instskip(NEXT) | instid1(VALU_DEP_2)
	v_fma_f64 v[0:1], s[4:5], v[2:3], -v[0:1]
	v_fma_f64 v[2:3], s[6:7], v[2:3], v[4:5]
	s_waitcnt vmcnt(0)
	s_delay_alu instid0(VALU_DEP_2) | instskip(NEXT) | instid1(VALU_DEP_2)
	v_add_f64 v[0:1], v[6:7], v[0:1]
	v_add_f64 v[2:3], v[8:9], v[2:3]
	global_store_b128 v[10:11], v[0:3], off
.LBB113_5:
	s_nop 0
	s_sendmsg sendmsg(MSG_DEALLOC_VGPRS)
	s_endpgm
	.section	.rodata,"a",@progbits
	.p2align	6, 0x0
	.amdhsa_kernel _ZL22rocblas_saxpy_2_kernelILi256E19rocblas_complex_numIdES1_PKPKS1_PKPS1_EviT1_lT2_llT3_lli
		.amdhsa_group_segment_fixed_size 0
		.amdhsa_private_segment_fixed_size 0
		.amdhsa_kernarg_size 84
		.amdhsa_user_sgpr_count 14
		.amdhsa_user_sgpr_dispatch_ptr 0
		.amdhsa_user_sgpr_queue_ptr 0
		.amdhsa_user_sgpr_kernarg_segment_ptr 1
		.amdhsa_user_sgpr_dispatch_id 0
		.amdhsa_user_sgpr_private_segment_size 0
		.amdhsa_wavefront_size32 1
		.amdhsa_uses_dynamic_stack 0
		.amdhsa_enable_private_segment 0
		.amdhsa_system_sgpr_workgroup_id_x 1
		.amdhsa_system_sgpr_workgroup_id_y 0
		.amdhsa_system_sgpr_workgroup_id_z 1
		.amdhsa_system_sgpr_workgroup_info 0
		.amdhsa_system_vgpr_workitem_id 0
		.amdhsa_next_free_vgpr 18
		.amdhsa_next_free_sgpr 24
		.amdhsa_reserve_vcc 1
		.amdhsa_float_round_mode_32 0
		.amdhsa_float_round_mode_16_64 0
		.amdhsa_float_denorm_mode_32 3
		.amdhsa_float_denorm_mode_16_64 3
		.amdhsa_dx10_clamp 1
		.amdhsa_ieee_mode 1
		.amdhsa_fp16_overflow 0
		.amdhsa_workgroup_processor_mode 1
		.amdhsa_memory_ordered 1
		.amdhsa_forward_progress 0
		.amdhsa_shared_vgpr_count 0
		.amdhsa_exception_fp_ieee_invalid_op 0
		.amdhsa_exception_fp_denorm_src 0
		.amdhsa_exception_fp_ieee_div_zero 0
		.amdhsa_exception_fp_ieee_overflow 0
		.amdhsa_exception_fp_ieee_underflow 0
		.amdhsa_exception_fp_ieee_inexact 0
		.amdhsa_exception_int_div_zero 0
	.end_amdhsa_kernel
	.section	.text._ZL22rocblas_saxpy_2_kernelILi256E19rocblas_complex_numIdES1_PKPKS1_PKPS1_EviT1_lT2_llT3_lli,"axG",@progbits,_ZL22rocblas_saxpy_2_kernelILi256E19rocblas_complex_numIdES1_PKPKS1_PKPS1_EviT1_lT2_llT3_lli,comdat
.Lfunc_end113:
	.size	_ZL22rocblas_saxpy_2_kernelILi256E19rocblas_complex_numIdES1_PKPKS1_PKPS1_EviT1_lT2_llT3_lli, .Lfunc_end113-_ZL22rocblas_saxpy_2_kernelILi256E19rocblas_complex_numIdES1_PKPKS1_PKPS1_EviT1_lT2_llT3_lli
                                        ; -- End function
	.section	.AMDGPU.csdata,"",@progbits
; Kernel info:
; codeLenInByte = 564
; NumSgprs: 26
; NumVgprs: 18
; ScratchSize: 0
; MemoryBound: 0
; FloatMode: 240
; IeeeMode: 1
; LDSByteSize: 0 bytes/workgroup (compile time only)
; SGPRBlocks: 3
; VGPRBlocks: 2
; NumSGPRsForWavesPerEU: 26
; NumVGPRsForWavesPerEU: 18
; Occupancy: 16
; WaveLimiterHint : 1
; COMPUTE_PGM_RSRC2:SCRATCH_EN: 0
; COMPUTE_PGM_RSRC2:USER_SGPR: 14
; COMPUTE_PGM_RSRC2:TRAP_HANDLER: 0
; COMPUTE_PGM_RSRC2:TGID_X_EN: 1
; COMPUTE_PGM_RSRC2:TGID_Y_EN: 0
; COMPUTE_PGM_RSRC2:TGID_Z_EN: 1
; COMPUTE_PGM_RSRC2:TIDIG_COMP_CNT: 0
	.section	.text._ZL27rocblas_axpy_kernel_batchedIiLi128ELi8E19rocblas_complex_numIdEPKS1_PKS3_PKPS1_EviT3_lT4_lT_lT5_lSB_li,"axG",@progbits,_ZL27rocblas_axpy_kernel_batchedIiLi128ELi8E19rocblas_complex_numIdEPKS1_PKS3_PKPS1_EviT3_lT4_lT_lT5_lSB_li,comdat
	.globl	_ZL27rocblas_axpy_kernel_batchedIiLi128ELi8E19rocblas_complex_numIdEPKS1_PKS3_PKPS1_EviT3_lT4_lT_lT5_lSB_li ; -- Begin function _ZL27rocblas_axpy_kernel_batchedIiLi128ELi8E19rocblas_complex_numIdEPKS1_PKS3_PKPS1_EviT3_lT4_lT_lT5_lSB_li
	.p2align	8
	.type	_ZL27rocblas_axpy_kernel_batchedIiLi128ELi8E19rocblas_complex_numIdEPKS1_PKS3_PKPS1_EviT3_lT4_lT_lT5_lSB_li,@function
_ZL27rocblas_axpy_kernel_batchedIiLi128ELi8E19rocblas_complex_numIdEPKS1_PKS3_PKPS1_EviT3_lT4_lT_lT5_lSB_li: ; @_ZL27rocblas_axpy_kernel_batchedIiLi128ELi8E19rocblas_complex_numIdEPKS1_PKS3_PKPS1_EviT3_lT4_lT_lT5_lSB_li
; %bb.0:
	s_load_b32 s2, s[0:1], 0x0
	v_dual_mov_b32 v2, 0 :: v_dual_and_b32 v1, 0x3ff, v0
	s_delay_alu instid0(VALU_DEP_1)
	v_lshl_add_u32 v1, s14, 7, v1
	s_waitcnt lgkmcnt(0)
	s_ashr_i32 s3, s2, 31
	s_delay_alu instid0(VALU_DEP_1) | instid1(SALU_CYCLE_1)
	v_cmp_gt_i64_e32 vcc_lo, s[2:3], v[1:2]
	s_and_saveexec_b32 s2, vcc_lo
	s_cbranch_execz .LBB114_13
; %bb.1:
	s_clause 0x3
	s_load_b32 s3, s[0:1], 0x28
	s_load_b32 s12, s[0:1], 0x48
	s_load_b128 s[16:19], s[0:1], 0x38
	s_load_b32 s2, s[0:1], 0x58
	v_bfe_u32 v0, v0, 10, 10
	s_load_b256 s[4:11], s[0:1], 0x8
	s_waitcnt lgkmcnt(0)
	v_mad_u64_u32 v[6:7], null, s3, v1, 0
	v_mad_u64_u32 v[4:5], null, s12, v1, 0
	v_lshlrev_b32_e32 v3, 2, v0
	s_ashr_i32 s1, s12, 31
	s_ashr_i32 s0, s3, 31
	s_delay_alu instid0(VALU_DEP_3) | instskip(NEXT) | instid1(VALU_DEP_3)
	v_mov_b32_e32 v0, v7
	v_mov_b32_e32 v2, v5
	s_delay_alu instid0(VALU_DEP_2) | instskip(NEXT) | instid1(VALU_DEP_2)
	v_mad_u64_u32 v[7:8], null, s0, v1, v[0:1]
	v_mad_u64_u32 v[9:10], null, s1, v1, v[2:3]
	v_lshl_add_u32 v8, s15, 5, v3
	s_mov_b32 s1, exec_lo
	s_delay_alu instid0(VALU_DEP_2) | instskip(NEXT) | instid1(VALU_DEP_2)
	v_mov_b32_e32 v5, v9
	v_cmpx_gt_u32_e64 s2, v8
	s_cbranch_execz .LBB114_4
; %bb.2:
	v_mad_u64_u32 v[0:1], null, v8, s6, 0
	s_delay_alu instid0(VALU_DEP_1) | instskip(NEXT) | instid1(VALU_DEP_1)
	v_mad_u64_u32 v[2:3], null, v8, s7, v[1:2]
	v_mov_b32_e32 v1, v2
	s_delay_alu instid0(VALU_DEP_1) | instskip(NEXT) | instid1(VALU_DEP_1)
	v_lshlrev_b64 v[0:1], 4, v[0:1]
	v_add_co_u32 v0, vcc_lo, s4, v0
	s_delay_alu instid0(VALU_DEP_2) | instskip(SKIP_4) | instid1(VALU_DEP_1)
	v_add_co_ci_u32_e32 v1, vcc_lo, s5, v1, vcc_lo
	global_load_b128 v[0:3], v[0:1], off
	s_waitcnt vmcnt(0)
	v_cmp_neq_f64_e32 vcc_lo, 0, v[0:1]
	v_cmp_neq_f64_e64 s0, 0, v[2:3]
	s_or_b32 s0, vcc_lo, s0
	s_delay_alu instid0(SALU_CYCLE_1)
	s_and_b32 exec_lo, exec_lo, s0
	s_cbranch_execz .LBB114_4
; %bb.3:
	v_mov_b32_e32 v9, 0
	s_lshl_b64 s[12:13], s[10:11], 4
	v_lshlrev_b64 v[15:16], 4, v[4:5]
	s_delay_alu instid0(VALU_DEP_2) | instskip(NEXT) | instid1(VALU_DEP_1)
	v_lshlrev_b64 v[9:10], 3, v[8:9]
	v_add_co_u32 v11, vcc_lo, s8, v9
	s_delay_alu instid0(VALU_DEP_2)
	v_add_co_ci_u32_e32 v12, vcc_lo, s9, v10, vcc_lo
	v_add_co_u32 v9, vcc_lo, s16, v9
	v_add_co_ci_u32_e32 v10, vcc_lo, s17, v10, vcc_lo
	global_load_b64 v[11:12], v[11:12], off
	global_load_b64 v[13:14], v[9:10], off
	v_lshlrev_b64 v[9:10], 4, v[6:7]
	s_waitcnt vmcnt(1)
	s_delay_alu instid0(VALU_DEP_1) | instskip(NEXT) | instid1(VALU_DEP_2)
	v_add_co_u32 v9, vcc_lo, v11, v9
	v_add_co_ci_u32_e32 v10, vcc_lo, v12, v10, vcc_lo
	s_delay_alu instid0(VALU_DEP_2) | instskip(NEXT) | instid1(VALU_DEP_2)
	v_add_co_u32 v9, vcc_lo, v9, s12
	v_add_co_ci_u32_e32 v10, vcc_lo, s13, v10, vcc_lo
	s_waitcnt vmcnt(0)
	v_add_co_u32 v13, vcc_lo, v13, v15
	v_add_co_ci_u32_e32 v14, vcc_lo, v14, v16, vcc_lo
	global_load_b128 v[9:12], v[9:10], off
	s_lshl_b64 s[12:13], s[18:19], 4
	s_delay_alu instid0(SALU_CYCLE_1)
	v_add_co_u32 v17, vcc_lo, v13, s12
	v_add_co_ci_u32_e32 v18, vcc_lo, s13, v14, vcc_lo
	global_load_b128 v[13:16], v[17:18], off
	s_waitcnt vmcnt(1)
	v_mul_f64 v[19:20], v[2:3], v[11:12]
	v_mul_f64 v[11:12], v[0:1], v[11:12]
	s_delay_alu instid0(VALU_DEP_2) | instskip(NEXT) | instid1(VALU_DEP_2)
	v_fma_f64 v[0:1], v[0:1], v[9:10], -v[19:20]
	v_fma_f64 v[2:3], v[2:3], v[9:10], v[11:12]
	s_waitcnt vmcnt(0)
	s_delay_alu instid0(VALU_DEP_2) | instskip(NEXT) | instid1(VALU_DEP_2)
	v_add_f64 v[0:1], v[13:14], v[0:1]
	v_add_f64 v[2:3], v[15:16], v[2:3]
	global_store_b128 v[17:18], v[0:3], off
.LBB114_4:
	s_or_b32 exec_lo, exec_lo, s1
	v_or_b32_e32 v0, 1, v8
	s_mov_b32 s1, exec_lo
	s_delay_alu instid0(VALU_DEP_1)
	v_cmpx_gt_u32_e64 s2, v0
	s_cbranch_execz .LBB114_7
; %bb.5:
	v_mad_u64_u32 v[1:2], null, v0, s6, 0
	s_delay_alu instid0(VALU_DEP_1) | instskip(NEXT) | instid1(VALU_DEP_1)
	v_mad_u64_u32 v[9:10], null, v0, s7, v[2:3]
	v_mov_b32_e32 v2, v9
	s_delay_alu instid0(VALU_DEP_1) | instskip(NEXT) | instid1(VALU_DEP_1)
	v_lshlrev_b64 v[0:1], 4, v[1:2]
	v_add_co_u32 v0, vcc_lo, s4, v0
	s_delay_alu instid0(VALU_DEP_2) | instskip(SKIP_4) | instid1(VALU_DEP_1)
	v_add_co_ci_u32_e32 v1, vcc_lo, s5, v1, vcc_lo
	global_load_b128 v[0:3], v[0:1], off
	s_waitcnt vmcnt(0)
	v_cmp_neq_f64_e32 vcc_lo, 0, v[0:1]
	v_cmp_neq_f64_e64 s0, 0, v[2:3]
	s_or_b32 s0, vcc_lo, s0
	s_delay_alu instid0(SALU_CYCLE_1)
	s_and_b32 exec_lo, exec_lo, s0
	s_cbranch_execz .LBB114_7
; %bb.6:
	v_mov_b32_e32 v9, 0
	s_lshl_b64 s[12:13], s[10:11], 4
	v_lshlrev_b64 v[15:16], 4, v[4:5]
	s_delay_alu instid0(VALU_DEP_2) | instskip(NEXT) | instid1(VALU_DEP_1)
	v_lshlrev_b64 v[9:10], 3, v[8:9]
	v_add_co_u32 v11, vcc_lo, s8, v9
	s_delay_alu instid0(VALU_DEP_2)
	v_add_co_ci_u32_e32 v12, vcc_lo, s9, v10, vcc_lo
	v_add_co_u32 v9, vcc_lo, s16, v9
	v_add_co_ci_u32_e32 v10, vcc_lo, s17, v10, vcc_lo
	global_load_b64 v[11:12], v[11:12], off offset:8
	global_load_b64 v[13:14], v[9:10], off offset:8
	v_lshlrev_b64 v[9:10], 4, v[6:7]
	s_waitcnt vmcnt(1)
	s_delay_alu instid0(VALU_DEP_1) | instskip(NEXT) | instid1(VALU_DEP_2)
	v_add_co_u32 v9, vcc_lo, v11, v9
	v_add_co_ci_u32_e32 v10, vcc_lo, v12, v10, vcc_lo
	s_delay_alu instid0(VALU_DEP_2) | instskip(NEXT) | instid1(VALU_DEP_2)
	v_add_co_u32 v9, vcc_lo, v9, s12
	v_add_co_ci_u32_e32 v10, vcc_lo, s13, v10, vcc_lo
	s_waitcnt vmcnt(0)
	v_add_co_u32 v13, vcc_lo, v13, v15
	v_add_co_ci_u32_e32 v14, vcc_lo, v14, v16, vcc_lo
	global_load_b128 v[9:12], v[9:10], off
	s_lshl_b64 s[12:13], s[18:19], 4
	s_delay_alu instid0(SALU_CYCLE_1)
	v_add_co_u32 v17, vcc_lo, v13, s12
	v_add_co_ci_u32_e32 v18, vcc_lo, s13, v14, vcc_lo
	global_load_b128 v[13:16], v[17:18], off
	s_waitcnt vmcnt(1)
	v_mul_f64 v[19:20], v[2:3], v[11:12]
	v_mul_f64 v[11:12], v[0:1], v[11:12]
	s_delay_alu instid0(VALU_DEP_2) | instskip(NEXT) | instid1(VALU_DEP_2)
	v_fma_f64 v[0:1], v[0:1], v[9:10], -v[19:20]
	v_fma_f64 v[2:3], v[2:3], v[9:10], v[11:12]
	s_waitcnt vmcnt(0)
	s_delay_alu instid0(VALU_DEP_2) | instskip(NEXT) | instid1(VALU_DEP_2)
	v_add_f64 v[0:1], v[13:14], v[0:1]
	v_add_f64 v[2:3], v[15:16], v[2:3]
	global_store_b128 v[17:18], v[0:3], off
.LBB114_7:
	s_or_b32 exec_lo, exec_lo, s1
	v_or_b32_e32 v0, 2, v8
	s_mov_b32 s1, exec_lo
	s_delay_alu instid0(VALU_DEP_1)
	v_cmpx_gt_u32_e64 s2, v0
	s_cbranch_execz .LBB114_10
; %bb.8:
	v_mad_u64_u32 v[1:2], null, v0, s6, 0
	s_delay_alu instid0(VALU_DEP_1) | instskip(NEXT) | instid1(VALU_DEP_1)
	v_mad_u64_u32 v[9:10], null, v0, s7, v[2:3]
	v_mov_b32_e32 v2, v9
	s_delay_alu instid0(VALU_DEP_1) | instskip(NEXT) | instid1(VALU_DEP_1)
	v_lshlrev_b64 v[0:1], 4, v[1:2]
	v_add_co_u32 v0, vcc_lo, s4, v0
	s_delay_alu instid0(VALU_DEP_2) | instskip(SKIP_4) | instid1(VALU_DEP_1)
	v_add_co_ci_u32_e32 v1, vcc_lo, s5, v1, vcc_lo
	global_load_b128 v[0:3], v[0:1], off
	s_waitcnt vmcnt(0)
	v_cmp_neq_f64_e32 vcc_lo, 0, v[0:1]
	v_cmp_neq_f64_e64 s0, 0, v[2:3]
	s_or_b32 s0, vcc_lo, s0
	s_delay_alu instid0(SALU_CYCLE_1)
	s_and_b32 exec_lo, exec_lo, s0
	s_cbranch_execz .LBB114_10
; %bb.9:
	v_mov_b32_e32 v9, 0
	s_lshl_b64 s[12:13], s[10:11], 4
	v_lshlrev_b64 v[15:16], 4, v[4:5]
	s_delay_alu instid0(VALU_DEP_2) | instskip(NEXT) | instid1(VALU_DEP_1)
	v_lshlrev_b64 v[9:10], 3, v[8:9]
	v_add_co_u32 v11, vcc_lo, s8, v9
	s_delay_alu instid0(VALU_DEP_2)
	v_add_co_ci_u32_e32 v12, vcc_lo, s9, v10, vcc_lo
	v_add_co_u32 v9, vcc_lo, s16, v9
	v_add_co_ci_u32_e32 v10, vcc_lo, s17, v10, vcc_lo
	global_load_b64 v[11:12], v[11:12], off offset:16
	global_load_b64 v[13:14], v[9:10], off offset:16
	v_lshlrev_b64 v[9:10], 4, v[6:7]
	s_waitcnt vmcnt(1)
	s_delay_alu instid0(VALU_DEP_1) | instskip(NEXT) | instid1(VALU_DEP_2)
	v_add_co_u32 v9, vcc_lo, v11, v9
	v_add_co_ci_u32_e32 v10, vcc_lo, v12, v10, vcc_lo
	s_delay_alu instid0(VALU_DEP_2) | instskip(NEXT) | instid1(VALU_DEP_2)
	v_add_co_u32 v9, vcc_lo, v9, s12
	v_add_co_ci_u32_e32 v10, vcc_lo, s13, v10, vcc_lo
	s_waitcnt vmcnt(0)
	v_add_co_u32 v13, vcc_lo, v13, v15
	v_add_co_ci_u32_e32 v14, vcc_lo, v14, v16, vcc_lo
	global_load_b128 v[9:12], v[9:10], off
	s_lshl_b64 s[12:13], s[18:19], 4
	s_delay_alu instid0(SALU_CYCLE_1)
	v_add_co_u32 v17, vcc_lo, v13, s12
	v_add_co_ci_u32_e32 v18, vcc_lo, s13, v14, vcc_lo
	global_load_b128 v[13:16], v[17:18], off
	s_waitcnt vmcnt(1)
	v_mul_f64 v[19:20], v[2:3], v[11:12]
	v_mul_f64 v[11:12], v[0:1], v[11:12]
	s_delay_alu instid0(VALU_DEP_2) | instskip(NEXT) | instid1(VALU_DEP_2)
	v_fma_f64 v[0:1], v[0:1], v[9:10], -v[19:20]
	v_fma_f64 v[2:3], v[2:3], v[9:10], v[11:12]
	s_waitcnt vmcnt(0)
	s_delay_alu instid0(VALU_DEP_2) | instskip(NEXT) | instid1(VALU_DEP_2)
	v_add_f64 v[0:1], v[13:14], v[0:1]
	v_add_f64 v[2:3], v[15:16], v[2:3]
	global_store_b128 v[17:18], v[0:3], off
.LBB114_10:
	s_or_b32 exec_lo, exec_lo, s1
	v_or_b32_e32 v0, 3, v8
	s_delay_alu instid0(VALU_DEP_1)
	v_cmp_gt_u32_e32 vcc_lo, s2, v0
	s_and_b32 exec_lo, exec_lo, vcc_lo
	s_cbranch_execz .LBB114_13
; %bb.11:
	v_mad_u64_u32 v[1:2], null, v0, s6, 0
	s_delay_alu instid0(VALU_DEP_1) | instskip(NEXT) | instid1(VALU_DEP_1)
	v_mad_u64_u32 v[9:10], null, v0, s7, v[2:3]
	v_mov_b32_e32 v2, v9
	s_delay_alu instid0(VALU_DEP_1) | instskip(NEXT) | instid1(VALU_DEP_1)
	v_lshlrev_b64 v[0:1], 4, v[1:2]
	v_add_co_u32 v0, vcc_lo, s4, v0
	s_delay_alu instid0(VALU_DEP_2) | instskip(SKIP_4) | instid1(VALU_DEP_1)
	v_add_co_ci_u32_e32 v1, vcc_lo, s5, v1, vcc_lo
	global_load_b128 v[0:3], v[0:1], off
	s_waitcnt vmcnt(0)
	v_cmp_neq_f64_e32 vcc_lo, 0, v[0:1]
	v_cmp_neq_f64_e64 s0, 0, v[2:3]
	s_or_b32 s0, vcc_lo, s0
	s_delay_alu instid0(SALU_CYCLE_1)
	s_and_b32 exec_lo, exec_lo, s0
	s_cbranch_execz .LBB114_13
; %bb.12:
	v_mov_b32_e32 v9, 0
	v_lshlrev_b64 v[6:7], 4, v[6:7]
	s_lshl_b64 s[0:1], s[10:11], 4
	v_lshlrev_b64 v[4:5], 4, v[4:5]
	s_delay_alu instid0(VALU_DEP_3) | instskip(NEXT) | instid1(VALU_DEP_1)
	v_lshlrev_b64 v[8:9], 3, v[8:9]
	v_add_co_u32 v10, vcc_lo, s8, v8
	s_delay_alu instid0(VALU_DEP_2)
	v_add_co_ci_u32_e32 v11, vcc_lo, s9, v9, vcc_lo
	v_add_co_u32 v8, vcc_lo, s16, v8
	v_add_co_ci_u32_e32 v9, vcc_lo, s17, v9, vcc_lo
	global_load_b64 v[10:11], v[10:11], off offset:24
	global_load_b64 v[12:13], v[8:9], off offset:24
	s_waitcnt vmcnt(1)
	v_add_co_u32 v6, vcc_lo, v10, v6
	v_add_co_ci_u32_e32 v7, vcc_lo, v11, v7, vcc_lo
	s_delay_alu instid0(VALU_DEP_2) | instskip(NEXT) | instid1(VALU_DEP_2)
	v_add_co_u32 v6, vcc_lo, v6, s0
	v_add_co_ci_u32_e32 v7, vcc_lo, s1, v7, vcc_lo
	s_waitcnt vmcnt(0)
	v_add_co_u32 v4, vcc_lo, v12, v4
	v_add_co_ci_u32_e32 v5, vcc_lo, v13, v5, vcc_lo
	global_load_b128 v[6:9], v[6:7], off
	s_lshl_b64 s[0:1], s[18:19], 4
	s_delay_alu instid0(SALU_CYCLE_1)
	v_add_co_u32 v4, vcc_lo, v4, s0
	v_add_co_ci_u32_e32 v5, vcc_lo, s1, v5, vcc_lo
	global_load_b128 v[10:13], v[4:5], off
	s_waitcnt vmcnt(1)
	v_mul_f64 v[14:15], v[2:3], v[8:9]
	v_mul_f64 v[8:9], v[0:1], v[8:9]
	s_delay_alu instid0(VALU_DEP_2) | instskip(NEXT) | instid1(VALU_DEP_2)
	v_fma_f64 v[0:1], v[0:1], v[6:7], -v[14:15]
	v_fma_f64 v[2:3], v[2:3], v[6:7], v[8:9]
	s_waitcnt vmcnt(0)
	s_delay_alu instid0(VALU_DEP_2) | instskip(NEXT) | instid1(VALU_DEP_2)
	v_add_f64 v[0:1], v[10:11], v[0:1]
	v_add_f64 v[2:3], v[12:13], v[2:3]
	global_store_b128 v[4:5], v[0:3], off
.LBB114_13:
	s_nop 0
	s_sendmsg sendmsg(MSG_DEALLOC_VGPRS)
	s_endpgm
	.section	.rodata,"a",@progbits
	.p2align	6, 0x0
	.amdhsa_kernel _ZL27rocblas_axpy_kernel_batchedIiLi128ELi8E19rocblas_complex_numIdEPKS1_PKS3_PKPS1_EviT3_lT4_lT_lT5_lSB_li
		.amdhsa_group_segment_fixed_size 0
		.amdhsa_private_segment_fixed_size 0
		.amdhsa_kernarg_size 92
		.amdhsa_user_sgpr_count 14
		.amdhsa_user_sgpr_dispatch_ptr 0
		.amdhsa_user_sgpr_queue_ptr 0
		.amdhsa_user_sgpr_kernarg_segment_ptr 1
		.amdhsa_user_sgpr_dispatch_id 0
		.amdhsa_user_sgpr_private_segment_size 0
		.amdhsa_wavefront_size32 1
		.amdhsa_uses_dynamic_stack 0
		.amdhsa_enable_private_segment 0
		.amdhsa_system_sgpr_workgroup_id_x 1
		.amdhsa_system_sgpr_workgroup_id_y 0
		.amdhsa_system_sgpr_workgroup_id_z 1
		.amdhsa_system_sgpr_workgroup_info 0
		.amdhsa_system_vgpr_workitem_id 1
		.amdhsa_next_free_vgpr 21
		.amdhsa_next_free_sgpr 20
		.amdhsa_reserve_vcc 1
		.amdhsa_float_round_mode_32 0
		.amdhsa_float_round_mode_16_64 0
		.amdhsa_float_denorm_mode_32 3
		.amdhsa_float_denorm_mode_16_64 3
		.amdhsa_dx10_clamp 1
		.amdhsa_ieee_mode 1
		.amdhsa_fp16_overflow 0
		.amdhsa_workgroup_processor_mode 1
		.amdhsa_memory_ordered 1
		.amdhsa_forward_progress 0
		.amdhsa_shared_vgpr_count 0
		.amdhsa_exception_fp_ieee_invalid_op 0
		.amdhsa_exception_fp_denorm_src 0
		.amdhsa_exception_fp_ieee_div_zero 0
		.amdhsa_exception_fp_ieee_overflow 0
		.amdhsa_exception_fp_ieee_underflow 0
		.amdhsa_exception_fp_ieee_inexact 0
		.amdhsa_exception_int_div_zero 0
	.end_amdhsa_kernel
	.section	.text._ZL27rocblas_axpy_kernel_batchedIiLi128ELi8E19rocblas_complex_numIdEPKS1_PKS3_PKPS1_EviT3_lT4_lT_lT5_lSB_li,"axG",@progbits,_ZL27rocblas_axpy_kernel_batchedIiLi128ELi8E19rocblas_complex_numIdEPKS1_PKS3_PKPS1_EviT3_lT4_lT_lT5_lSB_li,comdat
.Lfunc_end114:
	.size	_ZL27rocblas_axpy_kernel_batchedIiLi128ELi8E19rocblas_complex_numIdEPKS1_PKS3_PKPS1_EviT3_lT4_lT_lT5_lSB_li, .Lfunc_end114-_ZL27rocblas_axpy_kernel_batchedIiLi128ELi8E19rocblas_complex_numIdEPKS1_PKS3_PKPS1_EviT3_lT4_lT_lT5_lSB_li
                                        ; -- End function
	.section	.AMDGPU.csdata,"",@progbits
; Kernel info:
; codeLenInByte = 1620
; NumSgprs: 22
; NumVgprs: 21
; ScratchSize: 0
; MemoryBound: 0
; FloatMode: 240
; IeeeMode: 1
; LDSByteSize: 0 bytes/workgroup (compile time only)
; SGPRBlocks: 2
; VGPRBlocks: 2
; NumSGPRsForWavesPerEU: 22
; NumVGPRsForWavesPerEU: 21
; Occupancy: 16
; WaveLimiterHint : 1
; COMPUTE_PGM_RSRC2:SCRATCH_EN: 0
; COMPUTE_PGM_RSRC2:USER_SGPR: 14
; COMPUTE_PGM_RSRC2:TRAP_HANDLER: 0
; COMPUTE_PGM_RSRC2:TGID_X_EN: 1
; COMPUTE_PGM_RSRC2:TGID_Y_EN: 0
; COMPUTE_PGM_RSRC2:TGID_Z_EN: 1
; COMPUTE_PGM_RSRC2:TIDIG_COMP_CNT: 1
	.section	.text._ZL27rocblas_axpy_kernel_batchedIiLi128ELi8E19rocblas_complex_numIdES1_PKPKS1_PKPS1_EviT3_lT4_lT_lT5_lSB_li,"axG",@progbits,_ZL27rocblas_axpy_kernel_batchedIiLi128ELi8E19rocblas_complex_numIdES1_PKPKS1_PKPS1_EviT3_lT4_lT_lT5_lSB_li,comdat
	.globl	_ZL27rocblas_axpy_kernel_batchedIiLi128ELi8E19rocblas_complex_numIdES1_PKPKS1_PKPS1_EviT3_lT4_lT_lT5_lSB_li ; -- Begin function _ZL27rocblas_axpy_kernel_batchedIiLi128ELi8E19rocblas_complex_numIdES1_PKPKS1_PKPS1_EviT3_lT4_lT_lT5_lSB_li
	.p2align	8
	.type	_ZL27rocblas_axpy_kernel_batchedIiLi128ELi8E19rocblas_complex_numIdES1_PKPKS1_PKPS1_EviT3_lT4_lT_lT5_lSB_li,@function
_ZL27rocblas_axpy_kernel_batchedIiLi128ELi8E19rocblas_complex_numIdES1_PKPKS1_PKPS1_EviT3_lT4_lT_lT5_lSB_li: ; @_ZL27rocblas_axpy_kernel_batchedIiLi128ELi8E19rocblas_complex_numIdES1_PKPKS1_PKPS1_EviT3_lT4_lT_lT5_lSB_li
; %bb.0:
	s_load_b32 s2, s[0:1], 0x0
	v_dual_mov_b32 v2, 0 :: v_dual_and_b32 v1, 0x3ff, v0
	s_delay_alu instid0(VALU_DEP_1)
	v_lshl_add_u32 v1, s14, 7, v1
	s_waitcnt lgkmcnt(0)
	s_ashr_i32 s3, s2, 31
	s_delay_alu instid0(VALU_DEP_1) | instid1(SALU_CYCLE_1)
	v_cmp_gt_i64_e32 vcc_lo, s[2:3], v[1:2]
	s_and_saveexec_b32 s2, vcc_lo
	s_cbranch_execz .LBB115_9
; %bb.1:
	s_clause 0x5
	s_load_b128 s[4:7], s[0:1], 0x8
	s_load_b32 s2, s[0:1], 0x30
	s_load_b32 s3, s[0:1], 0x50
	s_load_b128 s[8:11], s[0:1], 0x20
	s_load_b128 s[16:19], s[0:1], 0x40
	s_load_b32 s0, s[0:1], 0x60
	v_bfe_u32 v4, v0, 10, 10
	s_waitcnt lgkmcnt(0)
	v_cmp_eq_f64_e64 s12, s[4:5], 0
	v_cmp_eq_f64_e64 s13, s[6:7], 0
	v_mad_u64_u32 v[2:3], null, s2, v1, 0
	v_mad_u64_u32 v[5:6], null, s3, v1, 0
	s_ashr_i32 s1, s2, 31
	s_ashr_i32 s2, s3, 31
	s_delay_alu instid0(VALU_DEP_1) | instskip(NEXT) | instid1(VALU_DEP_1)
	v_dual_mov_b32 v0, v3 :: v_dual_mov_b32 v3, v6
	v_mad_u64_u32 v[6:7], null, s1, v1, v[0:1]
	s_delay_alu instid0(VALU_DEP_2) | instskip(NEXT) | instid1(VALU_DEP_2)
	v_mad_u64_u32 v[7:8], null, s2, v1, v[3:4]
	v_dual_mov_b32 v3, v6 :: v_dual_lshlrev_b32 v0, 2, v4
	s_delay_alu instid0(VALU_DEP_1) | instskip(NEXT) | instid1(VALU_DEP_3)
	v_lshl_add_u32 v4, s15, 5, v0
	v_mov_b32_e32 v6, v7
	s_delay_alu instid0(VALU_DEP_3) | instskip(NEXT) | instid1(VALU_DEP_3)
	v_lshlrev_b64 v[2:3], 4, v[2:3]
	v_cmp_gt_u32_e32 vcc_lo, s0, v4
	s_delay_alu instid0(VALU_DEP_3) | instskip(SKIP_1) | instid1(SALU_CYCLE_1)
	v_lshlrev_b64 v[0:1], 4, v[5:6]
	s_and_b32 s1, s12, s13
	s_xor_b32 s1, s1, -1
	s_delay_alu instid0(SALU_CYCLE_1) | instskip(NEXT) | instid1(SALU_CYCLE_1)
	s_and_b32 s3, vcc_lo, s1
	s_and_saveexec_b32 s2, s3
	s_cbranch_execz .LBB115_3
; %bb.2:
	v_mov_b32_e32 v5, 0
	s_lshl_b64 s[12:13], s[10:11], 4
	s_delay_alu instid0(VALU_DEP_1) | instskip(NEXT) | instid1(VALU_DEP_1)
	v_lshlrev_b64 v[5:6], 3, v[4:5]
	v_add_co_u32 v7, vcc_lo, s8, v5
	s_delay_alu instid0(VALU_DEP_2)
	v_add_co_ci_u32_e32 v8, vcc_lo, s9, v6, vcc_lo
	v_add_co_u32 v5, vcc_lo, s16, v5
	v_add_co_ci_u32_e32 v6, vcc_lo, s17, v6, vcc_lo
	global_load_b64 v[7:8], v[7:8], off
	global_load_b64 v[9:10], v[5:6], off
	s_waitcnt vmcnt(1)
	v_add_co_u32 v5, vcc_lo, v7, v2
	v_add_co_ci_u32_e32 v6, vcc_lo, v8, v3, vcc_lo
	s_delay_alu instid0(VALU_DEP_2) | instskip(NEXT) | instid1(VALU_DEP_2)
	v_add_co_u32 v5, vcc_lo, v5, s12
	v_add_co_ci_u32_e32 v6, vcc_lo, s13, v6, vcc_lo
	s_waitcnt vmcnt(0)
	v_add_co_u32 v9, vcc_lo, v9, v0
	v_add_co_ci_u32_e32 v10, vcc_lo, v10, v1, vcc_lo
	global_load_b128 v[5:8], v[5:6], off
	s_lshl_b64 s[12:13], s[18:19], 4
	s_delay_alu instid0(SALU_CYCLE_1)
	v_add_co_u32 v13, vcc_lo, v9, s12
	v_add_co_ci_u32_e32 v14, vcc_lo, s13, v10, vcc_lo
	global_load_b128 v[9:12], v[13:14], off
	s_waitcnt vmcnt(1)
	v_mul_f64 v[15:16], s[6:7], v[7:8]
	v_mul_f64 v[7:8], s[4:5], v[7:8]
	s_delay_alu instid0(VALU_DEP_2) | instskip(NEXT) | instid1(VALU_DEP_2)
	v_fma_f64 v[15:16], s[4:5], v[5:6], -v[15:16]
	v_fma_f64 v[7:8], s[6:7], v[5:6], v[7:8]
	s_waitcnt vmcnt(0)
	s_delay_alu instid0(VALU_DEP_2) | instskip(NEXT) | instid1(VALU_DEP_2)
	v_add_f64 v[5:6], v[9:10], v[15:16]
	v_add_f64 v[7:8], v[11:12], v[7:8]
	global_store_b128 v[13:14], v[5:8], off
.LBB115_3:
	s_or_b32 exec_lo, exec_lo, s2
	v_or_b32_e32 v5, 1, v4
	s_delay_alu instid0(VALU_DEP_1) | instskip(SKIP_1) | instid1(SALU_CYCLE_1)
	v_cmp_gt_u32_e32 vcc_lo, s0, v5
	s_and_b32 s3, vcc_lo, s1
	s_and_saveexec_b32 s2, s3
	s_cbranch_execz .LBB115_5
; %bb.4:
	v_mov_b32_e32 v5, 0
	s_lshl_b64 s[12:13], s[10:11], 4
	s_delay_alu instid0(VALU_DEP_1) | instskip(NEXT) | instid1(VALU_DEP_1)
	v_lshlrev_b64 v[5:6], 3, v[4:5]
	v_add_co_u32 v7, vcc_lo, s8, v5
	s_delay_alu instid0(VALU_DEP_2)
	v_add_co_ci_u32_e32 v8, vcc_lo, s9, v6, vcc_lo
	v_add_co_u32 v5, vcc_lo, s16, v5
	v_add_co_ci_u32_e32 v6, vcc_lo, s17, v6, vcc_lo
	global_load_b64 v[7:8], v[7:8], off offset:8
	global_load_b64 v[9:10], v[5:6], off offset:8
	s_waitcnt vmcnt(1)
	v_add_co_u32 v5, vcc_lo, v7, v2
	v_add_co_ci_u32_e32 v6, vcc_lo, v8, v3, vcc_lo
	s_delay_alu instid0(VALU_DEP_2) | instskip(NEXT) | instid1(VALU_DEP_2)
	v_add_co_u32 v5, vcc_lo, v5, s12
	v_add_co_ci_u32_e32 v6, vcc_lo, s13, v6, vcc_lo
	s_waitcnt vmcnt(0)
	v_add_co_u32 v9, vcc_lo, v9, v0
	v_add_co_ci_u32_e32 v10, vcc_lo, v10, v1, vcc_lo
	global_load_b128 v[5:8], v[5:6], off
	s_lshl_b64 s[12:13], s[18:19], 4
	s_delay_alu instid0(SALU_CYCLE_1)
	v_add_co_u32 v13, vcc_lo, v9, s12
	v_add_co_ci_u32_e32 v14, vcc_lo, s13, v10, vcc_lo
	global_load_b128 v[9:12], v[13:14], off
	s_waitcnt vmcnt(1)
	v_mul_f64 v[15:16], s[6:7], v[7:8]
	v_mul_f64 v[7:8], s[4:5], v[7:8]
	s_delay_alu instid0(VALU_DEP_2) | instskip(NEXT) | instid1(VALU_DEP_2)
	v_fma_f64 v[15:16], s[4:5], v[5:6], -v[15:16]
	v_fma_f64 v[7:8], s[6:7], v[5:6], v[7:8]
	s_waitcnt vmcnt(0)
	s_delay_alu instid0(VALU_DEP_2) | instskip(NEXT) | instid1(VALU_DEP_2)
	v_add_f64 v[5:6], v[9:10], v[15:16]
	v_add_f64 v[7:8], v[11:12], v[7:8]
	global_store_b128 v[13:14], v[5:8], off
.LBB115_5:
	s_or_b32 exec_lo, exec_lo, s2
	v_or_b32_e32 v5, 2, v4
	s_delay_alu instid0(VALU_DEP_1) | instskip(SKIP_1) | instid1(SALU_CYCLE_1)
	v_cmp_gt_u32_e32 vcc_lo, s0, v5
	s_and_b32 s3, vcc_lo, s1
	s_and_saveexec_b32 s2, s3
	s_cbranch_execz .LBB115_7
; %bb.6:
	v_mov_b32_e32 v5, 0
	s_lshl_b64 s[12:13], s[10:11], 4
	s_delay_alu instid0(VALU_DEP_1) | instskip(NEXT) | instid1(VALU_DEP_1)
	v_lshlrev_b64 v[5:6], 3, v[4:5]
	v_add_co_u32 v7, vcc_lo, s8, v5
	s_delay_alu instid0(VALU_DEP_2)
	v_add_co_ci_u32_e32 v8, vcc_lo, s9, v6, vcc_lo
	v_add_co_u32 v5, vcc_lo, s16, v5
	v_add_co_ci_u32_e32 v6, vcc_lo, s17, v6, vcc_lo
	global_load_b64 v[7:8], v[7:8], off offset:16
	global_load_b64 v[9:10], v[5:6], off offset:16
	s_waitcnt vmcnt(1)
	v_add_co_u32 v5, vcc_lo, v7, v2
	v_add_co_ci_u32_e32 v6, vcc_lo, v8, v3, vcc_lo
	s_delay_alu instid0(VALU_DEP_2) | instskip(NEXT) | instid1(VALU_DEP_2)
	v_add_co_u32 v5, vcc_lo, v5, s12
	v_add_co_ci_u32_e32 v6, vcc_lo, s13, v6, vcc_lo
	s_waitcnt vmcnt(0)
	v_add_co_u32 v9, vcc_lo, v9, v0
	v_add_co_ci_u32_e32 v10, vcc_lo, v10, v1, vcc_lo
	global_load_b128 v[5:8], v[5:6], off
	s_lshl_b64 s[12:13], s[18:19], 4
	s_delay_alu instid0(SALU_CYCLE_1)
	v_add_co_u32 v13, vcc_lo, v9, s12
	v_add_co_ci_u32_e32 v14, vcc_lo, s13, v10, vcc_lo
	global_load_b128 v[9:12], v[13:14], off
	s_waitcnt vmcnt(1)
	v_mul_f64 v[15:16], s[6:7], v[7:8]
	v_mul_f64 v[7:8], s[4:5], v[7:8]
	s_delay_alu instid0(VALU_DEP_2) | instskip(NEXT) | instid1(VALU_DEP_2)
	v_fma_f64 v[15:16], s[4:5], v[5:6], -v[15:16]
	v_fma_f64 v[7:8], s[6:7], v[5:6], v[7:8]
	s_waitcnt vmcnt(0)
	s_delay_alu instid0(VALU_DEP_2) | instskip(NEXT) | instid1(VALU_DEP_2)
	v_add_f64 v[5:6], v[9:10], v[15:16]
	v_add_f64 v[7:8], v[11:12], v[7:8]
	global_store_b128 v[13:14], v[5:8], off
.LBB115_7:
	s_or_b32 exec_lo, exec_lo, s2
	v_or_b32_e32 v5, 3, v4
	s_delay_alu instid0(VALU_DEP_1) | instskip(SKIP_1) | instid1(SALU_CYCLE_1)
	v_cmp_gt_u32_e32 vcc_lo, s0, v5
	s_and_b32 s0, vcc_lo, s1
	s_and_b32 exec_lo, exec_lo, s0
	s_cbranch_execz .LBB115_9
; %bb.8:
	v_mov_b32_e32 v5, 0
	s_lshl_b64 s[0:1], s[10:11], 4
	s_delay_alu instid0(VALU_DEP_1) | instskip(NEXT) | instid1(VALU_DEP_1)
	v_lshlrev_b64 v[4:5], 3, v[4:5]
	v_add_co_u32 v6, vcc_lo, s8, v4
	s_delay_alu instid0(VALU_DEP_2)
	v_add_co_ci_u32_e32 v7, vcc_lo, s9, v5, vcc_lo
	v_add_co_u32 v4, vcc_lo, s16, v4
	v_add_co_ci_u32_e32 v5, vcc_lo, s17, v5, vcc_lo
	global_load_b64 v[6:7], v[6:7], off offset:24
	global_load_b64 v[8:9], v[4:5], off offset:24
	s_waitcnt vmcnt(1)
	v_add_co_u32 v2, vcc_lo, v6, v2
	v_add_co_ci_u32_e32 v3, vcc_lo, v7, v3, vcc_lo
	s_delay_alu instid0(VALU_DEP_2) | instskip(NEXT) | instid1(VALU_DEP_2)
	v_add_co_u32 v2, vcc_lo, v2, s0
	v_add_co_ci_u32_e32 v3, vcc_lo, s1, v3, vcc_lo
	s_waitcnt vmcnt(0)
	v_add_co_u32 v0, vcc_lo, v8, v0
	v_add_co_ci_u32_e32 v1, vcc_lo, v9, v1, vcc_lo
	global_load_b128 v[2:5], v[2:3], off
	s_lshl_b64 s[0:1], s[18:19], 4
	s_delay_alu instid0(SALU_CYCLE_1)
	v_add_co_u32 v10, vcc_lo, v0, s0
	v_add_co_ci_u32_e32 v11, vcc_lo, s1, v1, vcc_lo
	global_load_b128 v[6:9], v[10:11], off
	s_waitcnt vmcnt(1)
	v_mul_f64 v[0:1], s[6:7], v[4:5]
	v_mul_f64 v[4:5], s[4:5], v[4:5]
	s_delay_alu instid0(VALU_DEP_2) | instskip(NEXT) | instid1(VALU_DEP_2)
	v_fma_f64 v[0:1], s[4:5], v[2:3], -v[0:1]
	v_fma_f64 v[2:3], s[6:7], v[2:3], v[4:5]
	s_waitcnt vmcnt(0)
	s_delay_alu instid0(VALU_DEP_2) | instskip(NEXT) | instid1(VALU_DEP_2)
	v_add_f64 v[0:1], v[6:7], v[0:1]
	v_add_f64 v[2:3], v[8:9], v[2:3]
	global_store_b128 v[10:11], v[0:3], off
.LBB115_9:
	s_nop 0
	s_sendmsg sendmsg(MSG_DEALLOC_VGPRS)
	s_endpgm
	.section	.rodata,"a",@progbits
	.p2align	6, 0x0
	.amdhsa_kernel _ZL27rocblas_axpy_kernel_batchedIiLi128ELi8E19rocblas_complex_numIdES1_PKPKS1_PKPS1_EviT3_lT4_lT_lT5_lSB_li
		.amdhsa_group_segment_fixed_size 0
		.amdhsa_private_segment_fixed_size 0
		.amdhsa_kernarg_size 100
		.amdhsa_user_sgpr_count 14
		.amdhsa_user_sgpr_dispatch_ptr 0
		.amdhsa_user_sgpr_queue_ptr 0
		.amdhsa_user_sgpr_kernarg_segment_ptr 1
		.amdhsa_user_sgpr_dispatch_id 0
		.amdhsa_user_sgpr_private_segment_size 0
		.amdhsa_wavefront_size32 1
		.amdhsa_uses_dynamic_stack 0
		.amdhsa_enable_private_segment 0
		.amdhsa_system_sgpr_workgroup_id_x 1
		.amdhsa_system_sgpr_workgroup_id_y 0
		.amdhsa_system_sgpr_workgroup_id_z 1
		.amdhsa_system_sgpr_workgroup_info 0
		.amdhsa_system_vgpr_workitem_id 1
		.amdhsa_next_free_vgpr 17
		.amdhsa_next_free_sgpr 20
		.amdhsa_reserve_vcc 1
		.amdhsa_float_round_mode_32 0
		.amdhsa_float_round_mode_16_64 0
		.amdhsa_float_denorm_mode_32 3
		.amdhsa_float_denorm_mode_16_64 3
		.amdhsa_dx10_clamp 1
		.amdhsa_ieee_mode 1
		.amdhsa_fp16_overflow 0
		.amdhsa_workgroup_processor_mode 1
		.amdhsa_memory_ordered 1
		.amdhsa_forward_progress 0
		.amdhsa_shared_vgpr_count 0
		.amdhsa_exception_fp_ieee_invalid_op 0
		.amdhsa_exception_fp_denorm_src 0
		.amdhsa_exception_fp_ieee_div_zero 0
		.amdhsa_exception_fp_ieee_overflow 0
		.amdhsa_exception_fp_ieee_underflow 0
		.amdhsa_exception_fp_ieee_inexact 0
		.amdhsa_exception_int_div_zero 0
	.end_amdhsa_kernel
	.section	.text._ZL27rocblas_axpy_kernel_batchedIiLi128ELi8E19rocblas_complex_numIdES1_PKPKS1_PKPS1_EviT3_lT4_lT_lT5_lSB_li,"axG",@progbits,_ZL27rocblas_axpy_kernel_batchedIiLi128ELi8E19rocblas_complex_numIdES1_PKPKS1_PKPS1_EviT3_lT4_lT_lT5_lSB_li,comdat
.Lfunc_end115:
	.size	_ZL27rocblas_axpy_kernel_batchedIiLi128ELi8E19rocblas_complex_numIdES1_PKPKS1_PKPS1_EviT3_lT4_lT_lT5_lSB_li, .Lfunc_end115-_ZL27rocblas_axpy_kernel_batchedIiLi128ELi8E19rocblas_complex_numIdES1_PKPKS1_PKPS1_EviT3_lT4_lT_lT5_lSB_li
                                        ; -- End function
	.section	.AMDGPU.csdata,"",@progbits
; Kernel info:
; codeLenInByte = 1244
; NumSgprs: 22
; NumVgprs: 17
; ScratchSize: 0
; MemoryBound: 0
; FloatMode: 240
; IeeeMode: 1
; LDSByteSize: 0 bytes/workgroup (compile time only)
; SGPRBlocks: 2
; VGPRBlocks: 2
; NumSGPRsForWavesPerEU: 22
; NumVGPRsForWavesPerEU: 17
; Occupancy: 16
; WaveLimiterHint : 1
; COMPUTE_PGM_RSRC2:SCRATCH_EN: 0
; COMPUTE_PGM_RSRC2:USER_SGPR: 14
; COMPUTE_PGM_RSRC2:TRAP_HANDLER: 0
; COMPUTE_PGM_RSRC2:TGID_X_EN: 1
; COMPUTE_PGM_RSRC2:TGID_Y_EN: 0
; COMPUTE_PGM_RSRC2:TGID_Z_EN: 1
; COMPUTE_PGM_RSRC2:TIDIG_COMP_CNT: 1
	.section	.text._ZL19rocblas_axpy_kernelIiLi256E19rocblas_complex_numIdEPKS1_PKS3_PKPS1_EviT2_lT3_lT_lT4_lSB_li,"axG",@progbits,_ZL19rocblas_axpy_kernelIiLi256E19rocblas_complex_numIdEPKS1_PKS3_PKPS1_EviT2_lT3_lT_lT4_lSB_li,comdat
	.globl	_ZL19rocblas_axpy_kernelIiLi256E19rocblas_complex_numIdEPKS1_PKS3_PKPS1_EviT2_lT3_lT_lT4_lSB_li ; -- Begin function _ZL19rocblas_axpy_kernelIiLi256E19rocblas_complex_numIdEPKS1_PKS3_PKPS1_EviT2_lT3_lT_lT4_lSB_li
	.p2align	8
	.type	_ZL19rocblas_axpy_kernelIiLi256E19rocblas_complex_numIdEPKS1_PKS3_PKPS1_EviT2_lT3_lT_lT4_lSB_li,@function
_ZL19rocblas_axpy_kernelIiLi256E19rocblas_complex_numIdEPKS1_PKS3_PKPS1_EviT2_lT3_lT_lT4_lSB_li: ; @_ZL19rocblas_axpy_kernelIiLi256E19rocblas_complex_numIdEPKS1_PKS3_PKPS1_EviT2_lT3_lT_lT4_lSB_li
; %bb.0:
	s_clause 0x1
	s_load_b128 s[4:7], s[0:1], 0x8
	s_load_b32 s8, s[0:1], 0x0
	v_lshl_or_b32 v0, s14, 8, v0
	v_mov_b32_e32 v1, 0
	s_waitcnt lgkmcnt(0)
	s_mul_i32 s3, s15, s7
	s_mul_hi_u32 s7, s15, s6
	s_mul_i32 s6, s15, s6
	s_add_i32 s7, s7, s3
	s_ashr_i32 s9, s8, 31
	s_lshl_b64 s[6:7], s[6:7], 4
	v_cmp_gt_i64_e32 vcc_lo, s[8:9], v[0:1]
	s_add_u32 s4, s4, s6
	s_addc_u32 s5, s5, s7
	s_load_b128 s[4:7], s[4:5], 0x0
	s_waitcnt lgkmcnt(0)
	v_cmp_neq_f64_e64 s3, s[4:5], 0
	v_cmp_neq_f64_e64 s10, s[6:7], 0
	s_delay_alu instid0(VALU_DEP_1) | instskip(SKIP_2) | instid1(SALU_CYCLE_1)
	s_or_b32 s8, s3, s10
	s_mov_b32 s3, 0
	s_and_b32 s8, vcc_lo, s8
	s_and_saveexec_b32 s9, s8
	s_cbranch_execz .LBB116_2
; %bb.1:
	s_mov_b32 s2, s15
	s_clause 0x2
	s_load_b32 s14, s[0:1], 0x28
	s_load_b32 s15, s[0:1], 0x48
	s_load_b128 s[8:11], s[0:1], 0x18
	s_lshl_b64 s[12:13], s[2:3], 3
	s_waitcnt lgkmcnt(0)
	v_mad_u64_u32 v[1:2], null, s14, v0, 0
	s_ashr_i32 s14, s14, 31
	s_ashr_i32 s16, s15, 31
	s_add_u32 s2, s8, s12
	s_addc_u32 s3, s9, s13
	s_lshl_b64 s[8:9], s[10:11], 4
	s_load_b64 s[2:3], s[2:3], 0x0
	s_delay_alu instid0(VALU_DEP_1) | instskip(SKIP_1) | instid1(VALU_DEP_2)
	v_mad_u64_u32 v[3:4], null, s14, v0, v[2:3]
	v_mad_u64_u32 v[5:6], null, s15, v0, 0
	v_mov_b32_e32 v2, v3
	s_delay_alu instid0(VALU_DEP_2) | instskip(NEXT) | instid1(VALU_DEP_2)
	v_mad_u64_u32 v[7:8], null, s16, v0, v[6:7]
	v_lshlrev_b64 v[1:2], 4, v[1:2]
	s_delay_alu instid0(VALU_DEP_2) | instskip(SKIP_3) | instid1(VALU_DEP_2)
	v_mov_b32_e32 v6, v7
	s_waitcnt lgkmcnt(0)
	s_add_u32 s2, s8, s2
	s_addc_u32 s3, s9, s3
	v_add_co_u32 v1, vcc_lo, s2, v1
	v_add_co_ci_u32_e32 v2, vcc_lo, s3, v2, vcc_lo
	s_load_b128 s[0:3], s[0:1], 0x38
	v_lshlrev_b64 v[5:6], 4, v[5:6]
	global_load_b128 v[1:4], v[1:2], off
	s_waitcnt lgkmcnt(0)
	s_add_u32 s0, s0, s12
	s_addc_u32 s1, s1, s13
	s_lshl_b64 s[2:3], s[2:3], 4
	s_load_b64 s[0:1], s[0:1], 0x0
	s_waitcnt lgkmcnt(0)
	s_add_u32 s0, s2, s0
	s_addc_u32 s1, s3, s1
	v_add_co_u32 v9, vcc_lo, s0, v5
	v_add_co_ci_u32_e32 v10, vcc_lo, s1, v6, vcc_lo
	global_load_b128 v[5:8], v[9:10], off
	s_waitcnt vmcnt(1)
	v_mul_f64 v[11:12], s[6:7], v[3:4]
	v_mul_f64 v[3:4], s[4:5], v[3:4]
	s_delay_alu instid0(VALU_DEP_2) | instskip(NEXT) | instid1(VALU_DEP_2)
	v_fma_f64 v[11:12], s[4:5], v[1:2], -v[11:12]
	v_fma_f64 v[2:3], s[6:7], v[1:2], v[3:4]
	s_waitcnt vmcnt(0)
	s_delay_alu instid0(VALU_DEP_2) | instskip(NEXT) | instid1(VALU_DEP_2)
	v_add_f64 v[0:1], v[5:6], v[11:12]
	v_add_f64 v[2:3], v[7:8], v[2:3]
	global_store_b128 v[9:10], v[0:3], off
.LBB116_2:
	s_nop 0
	s_sendmsg sendmsg(MSG_DEALLOC_VGPRS)
	s_endpgm
	.section	.rodata,"a",@progbits
	.p2align	6, 0x0
	.amdhsa_kernel _ZL19rocblas_axpy_kernelIiLi256E19rocblas_complex_numIdEPKS1_PKS3_PKPS1_EviT2_lT3_lT_lT4_lSB_li
		.amdhsa_group_segment_fixed_size 0
		.amdhsa_private_segment_fixed_size 0
		.amdhsa_kernarg_size 92
		.amdhsa_user_sgpr_count 14
		.amdhsa_user_sgpr_dispatch_ptr 0
		.amdhsa_user_sgpr_queue_ptr 0
		.amdhsa_user_sgpr_kernarg_segment_ptr 1
		.amdhsa_user_sgpr_dispatch_id 0
		.amdhsa_user_sgpr_private_segment_size 0
		.amdhsa_wavefront_size32 1
		.amdhsa_uses_dynamic_stack 0
		.amdhsa_enable_private_segment 0
		.amdhsa_system_sgpr_workgroup_id_x 1
		.amdhsa_system_sgpr_workgroup_id_y 0
		.amdhsa_system_sgpr_workgroup_id_z 1
		.amdhsa_system_sgpr_workgroup_info 0
		.amdhsa_system_vgpr_workitem_id 0
		.amdhsa_next_free_vgpr 13
		.amdhsa_next_free_sgpr 17
		.amdhsa_reserve_vcc 1
		.amdhsa_float_round_mode_32 0
		.amdhsa_float_round_mode_16_64 0
		.amdhsa_float_denorm_mode_32 3
		.amdhsa_float_denorm_mode_16_64 3
		.amdhsa_dx10_clamp 1
		.amdhsa_ieee_mode 1
		.amdhsa_fp16_overflow 0
		.amdhsa_workgroup_processor_mode 1
		.amdhsa_memory_ordered 1
		.amdhsa_forward_progress 0
		.amdhsa_shared_vgpr_count 0
		.amdhsa_exception_fp_ieee_invalid_op 0
		.amdhsa_exception_fp_denorm_src 0
		.amdhsa_exception_fp_ieee_div_zero 0
		.amdhsa_exception_fp_ieee_overflow 0
		.amdhsa_exception_fp_ieee_underflow 0
		.amdhsa_exception_fp_ieee_inexact 0
		.amdhsa_exception_int_div_zero 0
	.end_amdhsa_kernel
	.section	.text._ZL19rocblas_axpy_kernelIiLi256E19rocblas_complex_numIdEPKS1_PKS3_PKPS1_EviT2_lT3_lT_lT4_lSB_li,"axG",@progbits,_ZL19rocblas_axpy_kernelIiLi256E19rocblas_complex_numIdEPKS1_PKS3_PKPS1_EviT2_lT3_lT_lT4_lSB_li,comdat
.Lfunc_end116:
	.size	_ZL19rocblas_axpy_kernelIiLi256E19rocblas_complex_numIdEPKS1_PKS3_PKPS1_EviT2_lT3_lT_lT4_lSB_li, .Lfunc_end116-_ZL19rocblas_axpy_kernelIiLi256E19rocblas_complex_numIdEPKS1_PKS3_PKPS1_EviT2_lT3_lT_lT4_lSB_li
                                        ; -- End function
	.section	.AMDGPU.csdata,"",@progbits
; Kernel info:
; codeLenInByte = 440
; NumSgprs: 19
; NumVgprs: 13
; ScratchSize: 0
; MemoryBound: 0
; FloatMode: 240
; IeeeMode: 1
; LDSByteSize: 0 bytes/workgroup (compile time only)
; SGPRBlocks: 2
; VGPRBlocks: 1
; NumSGPRsForWavesPerEU: 19
; NumVGPRsForWavesPerEU: 13
; Occupancy: 16
; WaveLimiterHint : 1
; COMPUTE_PGM_RSRC2:SCRATCH_EN: 0
; COMPUTE_PGM_RSRC2:USER_SGPR: 14
; COMPUTE_PGM_RSRC2:TRAP_HANDLER: 0
; COMPUTE_PGM_RSRC2:TGID_X_EN: 1
; COMPUTE_PGM_RSRC2:TGID_Y_EN: 0
; COMPUTE_PGM_RSRC2:TGID_Z_EN: 1
; COMPUTE_PGM_RSRC2:TIDIG_COMP_CNT: 0
	.section	.text._ZL19rocblas_axpy_kernelIiLi256E19rocblas_complex_numIdES1_PKPKS1_PKPS1_EviT2_lT3_lT_lT4_lSB_li,"axG",@progbits,_ZL19rocblas_axpy_kernelIiLi256E19rocblas_complex_numIdES1_PKPKS1_PKPS1_EviT2_lT3_lT_lT4_lSB_li,comdat
	.globl	_ZL19rocblas_axpy_kernelIiLi256E19rocblas_complex_numIdES1_PKPKS1_PKPS1_EviT2_lT3_lT_lT4_lSB_li ; -- Begin function _ZL19rocblas_axpy_kernelIiLi256E19rocblas_complex_numIdES1_PKPKS1_PKPS1_EviT2_lT3_lT_lT4_lSB_li
	.p2align	8
	.type	_ZL19rocblas_axpy_kernelIiLi256E19rocblas_complex_numIdES1_PKPKS1_PKPS1_EviT2_lT3_lT_lT4_lSB_li,@function
_ZL19rocblas_axpy_kernelIiLi256E19rocblas_complex_numIdES1_PKPKS1_PKPS1_EviT2_lT3_lT_lT4_lSB_li: ; @_ZL19rocblas_axpy_kernelIiLi256E19rocblas_complex_numIdES1_PKPKS1_PKPS1_EviT2_lT3_lT_lT4_lSB_li
; %bb.0:
	s_clause 0x1
	s_load_b128 s[4:7], s[0:1], 0x8
	s_load_b32 s8, s[0:1], 0x0
	v_lshl_or_b32 v0, s14, 8, v0
	v_mov_b32_e32 v1, 0
	s_waitcnt lgkmcnt(0)
	v_cmp_neq_f64_e64 s3, s[4:5], 0
	v_cmp_neq_f64_e64 s10, s[6:7], 0
	s_ashr_i32 s9, s8, 31
	s_delay_alu instid0(SALU_CYCLE_1) | instskip(NEXT) | instid1(VALU_DEP_2)
	v_cmp_gt_i64_e32 vcc_lo, s[8:9], v[0:1]
	s_or_b32 s3, s3, s10
	s_delay_alu instid0(SALU_CYCLE_1) | instskip(NEXT) | instid1(SALU_CYCLE_1)
	s_and_b32 s3, vcc_lo, s3
	s_and_saveexec_b32 s8, s3
	s_cbranch_execz .LBB117_2
; %bb.1:
	s_mov_b32 s2, s15
	s_clause 0x2
	s_load_b32 s14, s[0:1], 0x30
	s_load_b32 s15, s[0:1], 0x50
	s_load_b128 s[8:11], s[0:1], 0x20
	s_mov_b32 s3, 0
	s_delay_alu instid0(SALU_CYCLE_1)
	s_lshl_b64 s[12:13], s[2:3], 3
	s_waitcnt lgkmcnt(0)
	v_mad_u64_u32 v[1:2], null, s14, v0, 0
	s_ashr_i32 s14, s14, 31
	s_ashr_i32 s16, s15, 31
	s_add_u32 s2, s8, s12
	s_addc_u32 s3, s9, s13
	s_lshl_b64 s[8:9], s[10:11], 4
	s_load_b64 s[2:3], s[2:3], 0x0
	s_delay_alu instid0(VALU_DEP_1) | instskip(SKIP_1) | instid1(VALU_DEP_2)
	v_mad_u64_u32 v[3:4], null, s14, v0, v[2:3]
	v_mad_u64_u32 v[5:6], null, s15, v0, 0
	v_mov_b32_e32 v2, v3
	s_delay_alu instid0(VALU_DEP_2) | instskip(NEXT) | instid1(VALU_DEP_2)
	v_mad_u64_u32 v[7:8], null, s16, v0, v[6:7]
	v_lshlrev_b64 v[1:2], 4, v[1:2]
	s_delay_alu instid0(VALU_DEP_2) | instskip(SKIP_3) | instid1(VALU_DEP_2)
	v_mov_b32_e32 v6, v7
	s_waitcnt lgkmcnt(0)
	s_add_u32 s2, s8, s2
	s_addc_u32 s3, s9, s3
	v_add_co_u32 v1, vcc_lo, s2, v1
	v_add_co_ci_u32_e32 v2, vcc_lo, s3, v2, vcc_lo
	s_load_b128 s[0:3], s[0:1], 0x40
	v_lshlrev_b64 v[5:6], 4, v[5:6]
	global_load_b128 v[1:4], v[1:2], off
	s_waitcnt lgkmcnt(0)
	s_add_u32 s0, s0, s12
	s_addc_u32 s1, s1, s13
	s_lshl_b64 s[2:3], s[2:3], 4
	s_load_b64 s[0:1], s[0:1], 0x0
	s_waitcnt lgkmcnt(0)
	s_add_u32 s0, s2, s0
	s_addc_u32 s1, s3, s1
	v_add_co_u32 v9, vcc_lo, s0, v5
	v_add_co_ci_u32_e32 v10, vcc_lo, s1, v6, vcc_lo
	global_load_b128 v[5:8], v[9:10], off
	s_waitcnt vmcnt(1)
	v_mul_f64 v[11:12], s[6:7], v[3:4]
	v_mul_f64 v[3:4], s[4:5], v[3:4]
	s_delay_alu instid0(VALU_DEP_2) | instskip(NEXT) | instid1(VALU_DEP_2)
	v_fma_f64 v[11:12], s[4:5], v[1:2], -v[11:12]
	v_fma_f64 v[2:3], s[6:7], v[1:2], v[3:4]
	s_waitcnt vmcnt(0)
	s_delay_alu instid0(VALU_DEP_2) | instskip(NEXT) | instid1(VALU_DEP_2)
	v_add_f64 v[0:1], v[5:6], v[11:12]
	v_add_f64 v[2:3], v[7:8], v[2:3]
	global_store_b128 v[9:10], v[0:3], off
.LBB117_2:
	s_nop 0
	s_sendmsg sendmsg(MSG_DEALLOC_VGPRS)
	s_endpgm
	.section	.rodata,"a",@progbits
	.p2align	6, 0x0
	.amdhsa_kernel _ZL19rocblas_axpy_kernelIiLi256E19rocblas_complex_numIdES1_PKPKS1_PKPS1_EviT2_lT3_lT_lT4_lSB_li
		.amdhsa_group_segment_fixed_size 0
		.amdhsa_private_segment_fixed_size 0
		.amdhsa_kernarg_size 100
		.amdhsa_user_sgpr_count 14
		.amdhsa_user_sgpr_dispatch_ptr 0
		.amdhsa_user_sgpr_queue_ptr 0
		.amdhsa_user_sgpr_kernarg_segment_ptr 1
		.amdhsa_user_sgpr_dispatch_id 0
		.amdhsa_user_sgpr_private_segment_size 0
		.amdhsa_wavefront_size32 1
		.amdhsa_uses_dynamic_stack 0
		.amdhsa_enable_private_segment 0
		.amdhsa_system_sgpr_workgroup_id_x 1
		.amdhsa_system_sgpr_workgroup_id_y 0
		.amdhsa_system_sgpr_workgroup_id_z 1
		.amdhsa_system_sgpr_workgroup_info 0
		.amdhsa_system_vgpr_workitem_id 0
		.amdhsa_next_free_vgpr 13
		.amdhsa_next_free_sgpr 17
		.amdhsa_reserve_vcc 1
		.amdhsa_float_round_mode_32 0
		.amdhsa_float_round_mode_16_64 0
		.amdhsa_float_denorm_mode_32 3
		.amdhsa_float_denorm_mode_16_64 3
		.amdhsa_dx10_clamp 1
		.amdhsa_ieee_mode 1
		.amdhsa_fp16_overflow 0
		.amdhsa_workgroup_processor_mode 1
		.amdhsa_memory_ordered 1
		.amdhsa_forward_progress 0
		.amdhsa_shared_vgpr_count 0
		.amdhsa_exception_fp_ieee_invalid_op 0
		.amdhsa_exception_fp_denorm_src 0
		.amdhsa_exception_fp_ieee_div_zero 0
		.amdhsa_exception_fp_ieee_overflow 0
		.amdhsa_exception_fp_ieee_underflow 0
		.amdhsa_exception_fp_ieee_inexact 0
		.amdhsa_exception_int_div_zero 0
	.end_amdhsa_kernel
	.section	.text._ZL19rocblas_axpy_kernelIiLi256E19rocblas_complex_numIdES1_PKPKS1_PKPS1_EviT2_lT3_lT_lT4_lSB_li,"axG",@progbits,_ZL19rocblas_axpy_kernelIiLi256E19rocblas_complex_numIdES1_PKPKS1_PKPS1_EviT2_lT3_lT_lT4_lSB_li,comdat
.Lfunc_end117:
	.size	_ZL19rocblas_axpy_kernelIiLi256E19rocblas_complex_numIdES1_PKPKS1_PKPS1_EviT2_lT3_lT_lT4_lSB_li, .Lfunc_end117-_ZL19rocblas_axpy_kernelIiLi256E19rocblas_complex_numIdES1_PKPKS1_PKPS1_EviT2_lT3_lT_lT4_lSB_li
                                        ; -- End function
	.section	.AMDGPU.csdata,"",@progbits
; Kernel info:
; codeLenInByte = 408
; NumSgprs: 19
; NumVgprs: 13
; ScratchSize: 0
; MemoryBound: 0
; FloatMode: 240
; IeeeMode: 1
; LDSByteSize: 0 bytes/workgroup (compile time only)
; SGPRBlocks: 2
; VGPRBlocks: 1
; NumSGPRsForWavesPerEU: 19
; NumVGPRsForWavesPerEU: 13
; Occupancy: 16
; WaveLimiterHint : 1
; COMPUTE_PGM_RSRC2:SCRATCH_EN: 0
; COMPUTE_PGM_RSRC2:USER_SGPR: 14
; COMPUTE_PGM_RSRC2:TRAP_HANDLER: 0
; COMPUTE_PGM_RSRC2:TGID_X_EN: 1
; COMPUTE_PGM_RSRC2:TGID_Y_EN: 0
; COMPUTE_PGM_RSRC2:TGID_Z_EN: 1
; COMPUTE_PGM_RSRC2:TIDIG_COMP_CNT: 0
	.section	.text._ZL19rocblas_axpy_kernelIlLi256E19rocblas_complex_numIdEPKS1_PKS3_PKPS1_EviT2_lT3_lT_lT4_lSB_li,"axG",@progbits,_ZL19rocblas_axpy_kernelIlLi256E19rocblas_complex_numIdEPKS1_PKS3_PKPS1_EviT2_lT3_lT_lT4_lSB_li,comdat
	.globl	_ZL19rocblas_axpy_kernelIlLi256E19rocblas_complex_numIdEPKS1_PKS3_PKPS1_EviT2_lT3_lT_lT4_lSB_li ; -- Begin function _ZL19rocblas_axpy_kernelIlLi256E19rocblas_complex_numIdEPKS1_PKS3_PKPS1_EviT2_lT3_lT_lT4_lSB_li
	.p2align	8
	.type	_ZL19rocblas_axpy_kernelIlLi256E19rocblas_complex_numIdEPKS1_PKS3_PKPS1_EviT2_lT3_lT_lT4_lSB_li,@function
_ZL19rocblas_axpy_kernelIlLi256E19rocblas_complex_numIdEPKS1_PKS3_PKPS1_EviT2_lT3_lT_lT4_lSB_li: ; @_ZL19rocblas_axpy_kernelIlLi256E19rocblas_complex_numIdEPKS1_PKS3_PKPS1_EviT2_lT3_lT_lT4_lSB_li
; %bb.0:
	s_clause 0x1
	s_load_b128 s[4:7], s[0:1], 0x8
	s_load_b32 s8, s[0:1], 0x0
	v_lshl_or_b32 v0, s14, 8, v0
	v_mov_b32_e32 v1, 0
	s_waitcnt lgkmcnt(0)
	s_mul_i32 s3, s15, s7
	s_mul_hi_u32 s7, s15, s6
	s_mul_i32 s6, s15, s6
	s_add_i32 s7, s7, s3
	s_ashr_i32 s9, s8, 31
	s_lshl_b64 s[6:7], s[6:7], 4
	v_cmp_gt_i64_e32 vcc_lo, s[8:9], v[0:1]
	s_add_u32 s4, s4, s6
	s_addc_u32 s5, s5, s7
	s_load_b128 s[4:7], s[4:5], 0x0
	s_waitcnt lgkmcnt(0)
	v_cmp_neq_f64_e64 s3, s[4:5], 0
	v_cmp_neq_f64_e64 s10, s[6:7], 0
	s_delay_alu instid0(VALU_DEP_1) | instskip(SKIP_2) | instid1(SALU_CYCLE_1)
	s_or_b32 s8, s3, s10
	s_mov_b32 s3, 0
	s_and_b32 s8, vcc_lo, s8
	s_and_saveexec_b32 s9, s8
	s_cbranch_execz .LBB118_2
; %bb.1:
	s_clause 0x1
	s_load_b128 s[8:11], s[0:1], 0x20
	s_load_b64 s[12:13], s[0:1], 0x18
	s_mov_b32 s2, s15
	s_delay_alu instid0(SALU_CYCLE_1)
	s_lshl_b64 s[2:3], s[2:3], 3
	s_waitcnt lgkmcnt(0)
	v_mad_u64_u32 v[1:2], null, v0, s10, 0
	s_add_u32 s12, s12, s2
	s_addc_u32 s13, s13, s3
	s_lshl_b64 s[8:9], s[8:9], 4
	s_load_b64 s[12:13], s[12:13], 0x0
	s_delay_alu instid0(VALU_DEP_1) | instskip(NEXT) | instid1(VALU_DEP_1)
	v_mad_u64_u32 v[3:4], null, v0, s11, v[2:3]
	v_mov_b32_e32 v2, v3
	s_delay_alu instid0(VALU_DEP_1) | instskip(SKIP_3) | instid1(VALU_DEP_1)
	v_lshlrev_b64 v[1:2], 4, v[1:2]
	s_waitcnt lgkmcnt(0)
	s_add_u32 s8, s8, s12
	s_addc_u32 s9, s9, s13
	v_add_co_u32 v1, vcc_lo, s8, v1
	s_delay_alu instid0(VALU_DEP_2)
	v_add_co_ci_u32_e32 v2, vcc_lo, s9, v2, vcc_lo
	global_load_b128 v[1:4], v[1:2], off
	s_clause 0x1
	s_load_b128 s[8:11], s[0:1], 0x40
	s_load_b64 s[0:1], s[0:1], 0x38
	s_waitcnt lgkmcnt(0)
	v_mad_u64_u32 v[5:6], null, v0, s10, 0
	s_add_u32 s0, s0, s2
	s_addc_u32 s1, s1, s3
	s_lshl_b64 s[2:3], s[8:9], 4
	s_load_b64 s[0:1], s[0:1], 0x0
	s_delay_alu instid0(VALU_DEP_1) | instskip(NEXT) | instid1(VALU_DEP_1)
	v_mad_u64_u32 v[7:8], null, v0, s11, v[6:7]
	v_mov_b32_e32 v6, v7
	s_delay_alu instid0(VALU_DEP_1) | instskip(SKIP_3) | instid1(VALU_DEP_1)
	v_lshlrev_b64 v[5:6], 4, v[5:6]
	s_waitcnt lgkmcnt(0)
	s_add_u32 s0, s2, s0
	s_addc_u32 s1, s3, s1
	v_add_co_u32 v9, vcc_lo, s0, v5
	s_delay_alu instid0(VALU_DEP_2) | instskip(SKIP_4) | instid1(VALU_DEP_2)
	v_add_co_ci_u32_e32 v10, vcc_lo, s1, v6, vcc_lo
	global_load_b128 v[5:8], v[9:10], off
	s_waitcnt vmcnt(1)
	v_mul_f64 v[11:12], s[6:7], v[3:4]
	v_mul_f64 v[3:4], s[4:5], v[3:4]
	v_fma_f64 v[11:12], s[4:5], v[1:2], -v[11:12]
	s_delay_alu instid0(VALU_DEP_2) | instskip(SKIP_1) | instid1(VALU_DEP_2)
	v_fma_f64 v[2:3], s[6:7], v[1:2], v[3:4]
	s_waitcnt vmcnt(0)
	v_add_f64 v[0:1], v[5:6], v[11:12]
	s_delay_alu instid0(VALU_DEP_2)
	v_add_f64 v[2:3], v[7:8], v[2:3]
	global_store_b128 v[9:10], v[0:3], off
.LBB118_2:
	s_nop 0
	s_sendmsg sendmsg(MSG_DEALLOC_VGPRS)
	s_endpgm
	.section	.rodata,"a",@progbits
	.p2align	6, 0x0
	.amdhsa_kernel _ZL19rocblas_axpy_kernelIlLi256E19rocblas_complex_numIdEPKS1_PKS3_PKPS1_EviT2_lT3_lT_lT4_lSB_li
		.amdhsa_group_segment_fixed_size 0
		.amdhsa_private_segment_fixed_size 0
		.amdhsa_kernarg_size 92
		.amdhsa_user_sgpr_count 14
		.amdhsa_user_sgpr_dispatch_ptr 0
		.amdhsa_user_sgpr_queue_ptr 0
		.amdhsa_user_sgpr_kernarg_segment_ptr 1
		.amdhsa_user_sgpr_dispatch_id 0
		.amdhsa_user_sgpr_private_segment_size 0
		.amdhsa_wavefront_size32 1
		.amdhsa_uses_dynamic_stack 0
		.amdhsa_enable_private_segment 0
		.amdhsa_system_sgpr_workgroup_id_x 1
		.amdhsa_system_sgpr_workgroup_id_y 0
		.amdhsa_system_sgpr_workgroup_id_z 1
		.amdhsa_system_sgpr_workgroup_info 0
		.amdhsa_system_vgpr_workitem_id 0
		.amdhsa_next_free_vgpr 13
		.amdhsa_next_free_sgpr 16
		.amdhsa_reserve_vcc 1
		.amdhsa_float_round_mode_32 0
		.amdhsa_float_round_mode_16_64 0
		.amdhsa_float_denorm_mode_32 3
		.amdhsa_float_denorm_mode_16_64 3
		.amdhsa_dx10_clamp 1
		.amdhsa_ieee_mode 1
		.amdhsa_fp16_overflow 0
		.amdhsa_workgroup_processor_mode 1
		.amdhsa_memory_ordered 1
		.amdhsa_forward_progress 0
		.amdhsa_shared_vgpr_count 0
		.amdhsa_exception_fp_ieee_invalid_op 0
		.amdhsa_exception_fp_denorm_src 0
		.amdhsa_exception_fp_ieee_div_zero 0
		.amdhsa_exception_fp_ieee_overflow 0
		.amdhsa_exception_fp_ieee_underflow 0
		.amdhsa_exception_fp_ieee_inexact 0
		.amdhsa_exception_int_div_zero 0
	.end_amdhsa_kernel
	.section	.text._ZL19rocblas_axpy_kernelIlLi256E19rocblas_complex_numIdEPKS1_PKS3_PKPS1_EviT2_lT3_lT_lT4_lSB_li,"axG",@progbits,_ZL19rocblas_axpy_kernelIlLi256E19rocblas_complex_numIdEPKS1_PKS3_PKPS1_EviT2_lT3_lT_lT4_lSB_li,comdat
.Lfunc_end118:
	.size	_ZL19rocblas_axpy_kernelIlLi256E19rocblas_complex_numIdEPKS1_PKS3_PKPS1_EviT2_lT3_lT_lT4_lSB_li, .Lfunc_end118-_ZL19rocblas_axpy_kernelIlLi256E19rocblas_complex_numIdEPKS1_PKS3_PKPS1_EviT2_lT3_lT_lT4_lSB_li
                                        ; -- End function
	.section	.AMDGPU.csdata,"",@progbits
; Kernel info:
; codeLenInByte = 452
; NumSgprs: 18
; NumVgprs: 13
; ScratchSize: 0
; MemoryBound: 0
; FloatMode: 240
; IeeeMode: 1
; LDSByteSize: 0 bytes/workgroup (compile time only)
; SGPRBlocks: 2
; VGPRBlocks: 1
; NumSGPRsForWavesPerEU: 18
; NumVGPRsForWavesPerEU: 13
; Occupancy: 16
; WaveLimiterHint : 1
; COMPUTE_PGM_RSRC2:SCRATCH_EN: 0
; COMPUTE_PGM_RSRC2:USER_SGPR: 14
; COMPUTE_PGM_RSRC2:TRAP_HANDLER: 0
; COMPUTE_PGM_RSRC2:TGID_X_EN: 1
; COMPUTE_PGM_RSRC2:TGID_Y_EN: 0
; COMPUTE_PGM_RSRC2:TGID_Z_EN: 1
; COMPUTE_PGM_RSRC2:TIDIG_COMP_CNT: 0
	.section	.text._ZL19rocblas_axpy_kernelIlLi256E19rocblas_complex_numIdES1_PKPKS1_PKPS1_EviT2_lT3_lT_lT4_lSB_li,"axG",@progbits,_ZL19rocblas_axpy_kernelIlLi256E19rocblas_complex_numIdES1_PKPKS1_PKPS1_EviT2_lT3_lT_lT4_lSB_li,comdat
	.globl	_ZL19rocblas_axpy_kernelIlLi256E19rocblas_complex_numIdES1_PKPKS1_PKPS1_EviT2_lT3_lT_lT4_lSB_li ; -- Begin function _ZL19rocblas_axpy_kernelIlLi256E19rocblas_complex_numIdES1_PKPKS1_PKPS1_EviT2_lT3_lT_lT4_lSB_li
	.p2align	8
	.type	_ZL19rocblas_axpy_kernelIlLi256E19rocblas_complex_numIdES1_PKPKS1_PKPS1_EviT2_lT3_lT_lT4_lSB_li,@function
_ZL19rocblas_axpy_kernelIlLi256E19rocblas_complex_numIdES1_PKPKS1_PKPS1_EviT2_lT3_lT_lT4_lSB_li: ; @_ZL19rocblas_axpy_kernelIlLi256E19rocblas_complex_numIdES1_PKPKS1_PKPS1_EviT2_lT3_lT_lT4_lSB_li
; %bb.0:
	s_clause 0x1
	s_load_b128 s[4:7], s[0:1], 0x8
	s_load_b32 s8, s[0:1], 0x0
	v_lshl_or_b32 v0, s14, 8, v0
	v_mov_b32_e32 v1, 0
	s_waitcnt lgkmcnt(0)
	v_cmp_neq_f64_e64 s3, s[4:5], 0
	v_cmp_neq_f64_e64 s10, s[6:7], 0
	s_ashr_i32 s9, s8, 31
	s_delay_alu instid0(SALU_CYCLE_1) | instskip(NEXT) | instid1(VALU_DEP_2)
	v_cmp_gt_i64_e32 vcc_lo, s[8:9], v[0:1]
	s_or_b32 s3, s3, s10
	s_delay_alu instid0(SALU_CYCLE_1) | instskip(NEXT) | instid1(SALU_CYCLE_1)
	s_and_b32 s3, vcc_lo, s3
	s_and_saveexec_b32 s8, s3
	s_cbranch_execz .LBB119_2
; %bb.1:
	s_clause 0x1
	s_load_b128 s[8:11], s[0:1], 0x28
	s_load_b64 s[12:13], s[0:1], 0x20
	s_mov_b32 s2, s15
	s_mov_b32 s3, 0
	s_delay_alu instid0(SALU_CYCLE_1)
	s_lshl_b64 s[2:3], s[2:3], 3
	s_waitcnt lgkmcnt(0)
	v_mad_u64_u32 v[1:2], null, v0, s10, 0
	s_add_u32 s12, s12, s2
	s_addc_u32 s13, s13, s3
	s_lshl_b64 s[8:9], s[8:9], 4
	s_load_b64 s[12:13], s[12:13], 0x0
	s_delay_alu instid0(VALU_DEP_1) | instskip(NEXT) | instid1(VALU_DEP_1)
	v_mad_u64_u32 v[3:4], null, v0, s11, v[2:3]
	v_mov_b32_e32 v2, v3
	s_delay_alu instid0(VALU_DEP_1) | instskip(SKIP_3) | instid1(VALU_DEP_1)
	v_lshlrev_b64 v[1:2], 4, v[1:2]
	s_waitcnt lgkmcnt(0)
	s_add_u32 s8, s8, s12
	s_addc_u32 s9, s9, s13
	v_add_co_u32 v1, vcc_lo, s8, v1
	s_delay_alu instid0(VALU_DEP_2)
	v_add_co_ci_u32_e32 v2, vcc_lo, s9, v2, vcc_lo
	global_load_b128 v[1:4], v[1:2], off
	s_clause 0x1
	s_load_b128 s[8:11], s[0:1], 0x48
	s_load_b64 s[0:1], s[0:1], 0x40
	s_waitcnt lgkmcnt(0)
	v_mad_u64_u32 v[5:6], null, v0, s10, 0
	s_add_u32 s0, s0, s2
	s_addc_u32 s1, s1, s3
	s_lshl_b64 s[2:3], s[8:9], 4
	s_load_b64 s[0:1], s[0:1], 0x0
	s_delay_alu instid0(VALU_DEP_1) | instskip(NEXT) | instid1(VALU_DEP_1)
	v_mad_u64_u32 v[7:8], null, v0, s11, v[6:7]
	v_mov_b32_e32 v6, v7
	s_delay_alu instid0(VALU_DEP_1) | instskip(SKIP_3) | instid1(VALU_DEP_1)
	v_lshlrev_b64 v[5:6], 4, v[5:6]
	s_waitcnt lgkmcnt(0)
	s_add_u32 s0, s2, s0
	s_addc_u32 s1, s3, s1
	v_add_co_u32 v9, vcc_lo, s0, v5
	s_delay_alu instid0(VALU_DEP_2) | instskip(SKIP_4) | instid1(VALU_DEP_2)
	v_add_co_ci_u32_e32 v10, vcc_lo, s1, v6, vcc_lo
	global_load_b128 v[5:8], v[9:10], off
	s_waitcnt vmcnt(1)
	v_mul_f64 v[11:12], s[6:7], v[3:4]
	v_mul_f64 v[3:4], s[4:5], v[3:4]
	v_fma_f64 v[11:12], s[4:5], v[1:2], -v[11:12]
	s_delay_alu instid0(VALU_DEP_2) | instskip(SKIP_1) | instid1(VALU_DEP_2)
	v_fma_f64 v[2:3], s[6:7], v[1:2], v[3:4]
	s_waitcnt vmcnt(0)
	v_add_f64 v[0:1], v[5:6], v[11:12]
	s_delay_alu instid0(VALU_DEP_2)
	v_add_f64 v[2:3], v[7:8], v[2:3]
	global_store_b128 v[9:10], v[0:3], off
.LBB119_2:
	s_nop 0
	s_sendmsg sendmsg(MSG_DEALLOC_VGPRS)
	s_endpgm
	.section	.rodata,"a",@progbits
	.p2align	6, 0x0
	.amdhsa_kernel _ZL19rocblas_axpy_kernelIlLi256E19rocblas_complex_numIdES1_PKPKS1_PKPS1_EviT2_lT3_lT_lT4_lSB_li
		.amdhsa_group_segment_fixed_size 0
		.amdhsa_private_segment_fixed_size 0
		.amdhsa_kernarg_size 100
		.amdhsa_user_sgpr_count 14
		.amdhsa_user_sgpr_dispatch_ptr 0
		.amdhsa_user_sgpr_queue_ptr 0
		.amdhsa_user_sgpr_kernarg_segment_ptr 1
		.amdhsa_user_sgpr_dispatch_id 0
		.amdhsa_user_sgpr_private_segment_size 0
		.amdhsa_wavefront_size32 1
		.amdhsa_uses_dynamic_stack 0
		.amdhsa_enable_private_segment 0
		.amdhsa_system_sgpr_workgroup_id_x 1
		.amdhsa_system_sgpr_workgroup_id_y 0
		.amdhsa_system_sgpr_workgroup_id_z 1
		.amdhsa_system_sgpr_workgroup_info 0
		.amdhsa_system_vgpr_workitem_id 0
		.amdhsa_next_free_vgpr 13
		.amdhsa_next_free_sgpr 16
		.amdhsa_reserve_vcc 1
		.amdhsa_float_round_mode_32 0
		.amdhsa_float_round_mode_16_64 0
		.amdhsa_float_denorm_mode_32 3
		.amdhsa_float_denorm_mode_16_64 3
		.amdhsa_dx10_clamp 1
		.amdhsa_ieee_mode 1
		.amdhsa_fp16_overflow 0
		.amdhsa_workgroup_processor_mode 1
		.amdhsa_memory_ordered 1
		.amdhsa_forward_progress 0
		.amdhsa_shared_vgpr_count 0
		.amdhsa_exception_fp_ieee_invalid_op 0
		.amdhsa_exception_fp_denorm_src 0
		.amdhsa_exception_fp_ieee_div_zero 0
		.amdhsa_exception_fp_ieee_overflow 0
		.amdhsa_exception_fp_ieee_underflow 0
		.amdhsa_exception_fp_ieee_inexact 0
		.amdhsa_exception_int_div_zero 0
	.end_amdhsa_kernel
	.section	.text._ZL19rocblas_axpy_kernelIlLi256E19rocblas_complex_numIdES1_PKPKS1_PKPS1_EviT2_lT3_lT_lT4_lSB_li,"axG",@progbits,_ZL19rocblas_axpy_kernelIlLi256E19rocblas_complex_numIdES1_PKPKS1_PKPS1_EviT2_lT3_lT_lT4_lSB_li,comdat
.Lfunc_end119:
	.size	_ZL19rocblas_axpy_kernelIlLi256E19rocblas_complex_numIdES1_PKPKS1_PKPS1_EviT2_lT3_lT_lT4_lSB_li, .Lfunc_end119-_ZL19rocblas_axpy_kernelIlLi256E19rocblas_complex_numIdES1_PKPKS1_PKPS1_EviT2_lT3_lT_lT4_lSB_li
                                        ; -- End function
	.section	.AMDGPU.csdata,"",@progbits
; Kernel info:
; codeLenInByte = 416
; NumSgprs: 18
; NumVgprs: 13
; ScratchSize: 0
; MemoryBound: 0
; FloatMode: 240
; IeeeMode: 1
; LDSByteSize: 0 bytes/workgroup (compile time only)
; SGPRBlocks: 2
; VGPRBlocks: 1
; NumSGPRsForWavesPerEU: 18
; NumVGPRsForWavesPerEU: 13
; Occupancy: 16
; WaveLimiterHint : 1
; COMPUTE_PGM_RSRC2:SCRATCH_EN: 0
; COMPUTE_PGM_RSRC2:USER_SGPR: 14
; COMPUTE_PGM_RSRC2:TRAP_HANDLER: 0
; COMPUTE_PGM_RSRC2:TGID_X_EN: 1
; COMPUTE_PGM_RSRC2:TGID_Y_EN: 0
; COMPUTE_PGM_RSRC2:TGID_Z_EN: 1
; COMPUTE_PGM_RSRC2:TIDIG_COMP_CNT: 0
	.section	.text._ZL26rocblas_haxpy_mlt_8_kernelILi256EPKDF16_PK16rocblas_bfloat16PS2_EviT0_lT1_llT2_lli,"axG",@progbits,_ZL26rocblas_haxpy_mlt_8_kernelILi256EPKDF16_PK16rocblas_bfloat16PS2_EviT0_lT1_llT2_lli,comdat
	.globl	_ZL26rocblas_haxpy_mlt_8_kernelILi256EPKDF16_PK16rocblas_bfloat16PS2_EviT0_lT1_llT2_lli ; -- Begin function _ZL26rocblas_haxpy_mlt_8_kernelILi256EPKDF16_PK16rocblas_bfloat16PS2_EviT0_lT1_llT2_lli
	.p2align	8
	.type	_ZL26rocblas_haxpy_mlt_8_kernelILi256EPKDF16_PK16rocblas_bfloat16PS2_EviT0_lT1_llT2_lli,@function
_ZL26rocblas_haxpy_mlt_8_kernelILi256EPKDF16_PK16rocblas_bfloat16PS2_EviT0_lT1_llT2_lli: ; @_ZL26rocblas_haxpy_mlt_8_kernelILi256EPKDF16_PK16rocblas_bfloat16PS2_EviT0_lT1_llT2_lli
; %bb.0:
	s_load_b512 s[16:31], s[0:1], 0x8
	v_mov_b32_e32 v1, 0
	s_waitcnt lgkmcnt(0)
	s_mul_i32 s3, s15, s19
	s_mul_hi_u32 s4, s15, s18
	s_mul_i32 s2, s15, s18
	s_add_i32 s3, s4, s3
	s_delay_alu instid0(SALU_CYCLE_1) | instskip(NEXT) | instid1(SALU_CYCLE_1)
	s_lshl_b64 s[2:3], s[2:3], 1
	s_add_u32 s2, s16, s2
	s_addc_u32 s3, s17, s3
	global_load_u16 v2, v1, s[2:3]
	s_waitcnt vmcnt(0)
	v_and_b32_e32 v3, 0xffff, v2
	s_delay_alu instid0(VALU_DEP_1) | instskip(NEXT) | instid1(VALU_DEP_1)
	v_lshl_or_b32 v3, v2, 16, v3
	v_and_b32_e32 v3, 0x7fff, v3
	s_delay_alu instid0(VALU_DEP_1)
	v_cmp_eq_u32_e32 vcc_lo, 0, v3
	s_cbranch_vccnz .LBB120_3
; %bb.1:
	s_load_b32 s0, s[0:1], 0x0
	v_lshl_or_b32 v0, s14, 8, v0
	s_delay_alu instid0(VALU_DEP_1)
	v_lshlrev_b64 v[0:1], 3, v[0:1]
	s_waitcnt lgkmcnt(0)
	s_ashr_i32 s1, s0, 31
	s_delay_alu instid0(VALU_DEP_1) | instid1(SALU_CYCLE_1)
	v_cmp_gt_i64_e32 vcc_lo, s[0:1], v[0:1]
	s_and_saveexec_b32 s0, vcc_lo
	s_cbranch_execz .LBB120_3
; %bb.2:
	s_mul_i32 s1, s15, s25
	s_mul_hi_u32 s2, s15, s24
	s_mul_i32 s0, s15, s24
	s_add_i32 s1, s2, s1
	s_mul_i32 s4, s15, s31
	s_lshl_b64 s[0:1], s[0:1], 1
	v_lshlrev_b64 v[0:1], 1, v[0:1]
	s_add_u32 s2, s20, s0
	s_addc_u32 s3, s21, s1
	s_lshl_b64 s[0:1], s[22:23], 1
	s_delay_alu instid0(SALU_CYCLE_1)
	s_add_u32 s2, s0, s2
	s_mul_hi_u32 s0, s15, s30
	s_addc_u32 s3, s1, s3
	s_add_i32 s1, s0, s4
	s_mul_i32 s0, s15, s30
	v_add_co_u32 v3, vcc_lo, s2, v0
	s_lshl_b64 s[0:1], s[0:1], 1
	v_add_co_ci_u32_e32 v4, vcc_lo, s3, v1, vcc_lo
	s_add_u32 s4, s26, s0
	s_addc_u32 s5, s27, s1
	s_lshl_b64 s[0:1], s[28:29], 1
	s_delay_alu instid0(SALU_CYCLE_1)
	s_add_u32 s0, s0, s4
	s_addc_u32 s1, s1, s5
	v_add_co_u32 v0, vcc_lo, s0, v0
	v_add_co_ci_u32_e32 v1, vcc_lo, s1, v1, vcc_lo
	global_load_b128 v[3:6], v[3:4], off
	global_load_b128 v[7:10], v[0:1], off
	s_waitcnt vmcnt(0)
	v_pk_fma_f16 v6, v2, v6, v10 op_sel_hi:[0,1,1]
	v_pk_fma_f16 v5, v2, v5, v9 op_sel_hi:[0,1,1]
	;; [unrolled: 1-line block ×4, first 2 shown]
	global_store_b128 v[0:1], v[3:6], off
.LBB120_3:
	s_nop 0
	s_sendmsg sendmsg(MSG_DEALLOC_VGPRS)
	s_endpgm
	.section	.rodata,"a",@progbits
	.p2align	6, 0x0
	.amdhsa_kernel _ZL26rocblas_haxpy_mlt_8_kernelILi256EPKDF16_PK16rocblas_bfloat16PS2_EviT0_lT1_llT2_lli
		.amdhsa_group_segment_fixed_size 0
		.amdhsa_private_segment_fixed_size 0
		.amdhsa_kernarg_size 76
		.amdhsa_user_sgpr_count 14
		.amdhsa_user_sgpr_dispatch_ptr 0
		.amdhsa_user_sgpr_queue_ptr 0
		.amdhsa_user_sgpr_kernarg_segment_ptr 1
		.amdhsa_user_sgpr_dispatch_id 0
		.amdhsa_user_sgpr_private_segment_size 0
		.amdhsa_wavefront_size32 1
		.amdhsa_uses_dynamic_stack 0
		.amdhsa_enable_private_segment 0
		.amdhsa_system_sgpr_workgroup_id_x 1
		.amdhsa_system_sgpr_workgroup_id_y 0
		.amdhsa_system_sgpr_workgroup_id_z 1
		.amdhsa_system_sgpr_workgroup_info 0
		.amdhsa_system_vgpr_workitem_id 0
		.amdhsa_next_free_vgpr 11
		.amdhsa_next_free_sgpr 32
		.amdhsa_reserve_vcc 1
		.amdhsa_float_round_mode_32 0
		.amdhsa_float_round_mode_16_64 0
		.amdhsa_float_denorm_mode_32 3
		.amdhsa_float_denorm_mode_16_64 3
		.amdhsa_dx10_clamp 1
		.amdhsa_ieee_mode 1
		.amdhsa_fp16_overflow 0
		.amdhsa_workgroup_processor_mode 1
		.amdhsa_memory_ordered 1
		.amdhsa_forward_progress 0
		.amdhsa_shared_vgpr_count 0
		.amdhsa_exception_fp_ieee_invalid_op 0
		.amdhsa_exception_fp_denorm_src 0
		.amdhsa_exception_fp_ieee_div_zero 0
		.amdhsa_exception_fp_ieee_overflow 0
		.amdhsa_exception_fp_ieee_underflow 0
		.amdhsa_exception_fp_ieee_inexact 0
		.amdhsa_exception_int_div_zero 0
	.end_amdhsa_kernel
	.section	.text._ZL26rocblas_haxpy_mlt_8_kernelILi256EPKDF16_PK16rocblas_bfloat16PS2_EviT0_lT1_llT2_lli,"axG",@progbits,_ZL26rocblas_haxpy_mlt_8_kernelILi256EPKDF16_PK16rocblas_bfloat16PS2_EviT0_lT1_llT2_lli,comdat
.Lfunc_end120:
	.size	_ZL26rocblas_haxpy_mlt_8_kernelILi256EPKDF16_PK16rocblas_bfloat16PS2_EviT0_lT1_llT2_lli, .Lfunc_end120-_ZL26rocblas_haxpy_mlt_8_kernelILi256EPKDF16_PK16rocblas_bfloat16PS2_EviT0_lT1_llT2_lli
                                        ; -- End function
	.section	.AMDGPU.csdata,"",@progbits
; Kernel info:
; codeLenInByte = 344
; NumSgprs: 34
; NumVgprs: 11
; ScratchSize: 0
; MemoryBound: 0
; FloatMode: 240
; IeeeMode: 1
; LDSByteSize: 0 bytes/workgroup (compile time only)
; SGPRBlocks: 4
; VGPRBlocks: 1
; NumSGPRsForWavesPerEU: 34
; NumVGPRsForWavesPerEU: 11
; Occupancy: 16
; WaveLimiterHint : 0
; COMPUTE_PGM_RSRC2:SCRATCH_EN: 0
; COMPUTE_PGM_RSRC2:USER_SGPR: 14
; COMPUTE_PGM_RSRC2:TRAP_HANDLER: 0
; COMPUTE_PGM_RSRC2:TGID_X_EN: 1
; COMPUTE_PGM_RSRC2:TGID_Y_EN: 0
; COMPUTE_PGM_RSRC2:TGID_Z_EN: 1
; COMPUTE_PGM_RSRC2:TIDIG_COMP_CNT: 0
	.section	.text._ZL26rocblas_haxpy_mod_8_kernelILi256EPK16rocblas_bfloat16S2_PS0_EviT0_lT1_llT2_lli,"axG",@progbits,_ZL26rocblas_haxpy_mod_8_kernelILi256EPK16rocblas_bfloat16S2_PS0_EviT0_lT1_llT2_lli,comdat
	.globl	_ZL26rocblas_haxpy_mod_8_kernelILi256EPK16rocblas_bfloat16S2_PS0_EviT0_lT1_llT2_lli ; -- Begin function _ZL26rocblas_haxpy_mod_8_kernelILi256EPK16rocblas_bfloat16S2_PS0_EviT0_lT1_llT2_lli
	.p2align	8
	.type	_ZL26rocblas_haxpy_mod_8_kernelILi256EPK16rocblas_bfloat16S2_PS0_EviT0_lT1_llT2_lli,@function
_ZL26rocblas_haxpy_mod_8_kernelILi256EPK16rocblas_bfloat16S2_PS0_EviT0_lT1_llT2_lli: ; @_ZL26rocblas_haxpy_mod_8_kernelILi256EPK16rocblas_bfloat16S2_PS0_EviT0_lT1_llT2_lli
; %bb.0:
	s_clause 0x1
	s_load_b512 s[16:31], s[0:1], 0x8
	s_load_b32 s0, s[0:1], 0x0
	v_mov_b32_e32 v1, 0
	v_lshl_or_b32 v0, s14, 8, v0
	s_waitcnt lgkmcnt(0)
	s_mul_i32 s1, s15, s19
	s_mul_hi_u32 s2, s15, s18
	s_delay_alu instid0(SALU_CYCLE_1)
	s_add_i32 s3, s2, s1
	s_mul_i32 s2, s15, s18
	s_ashr_i32 s1, s0, 31
	s_lshl_b64 s[2:3], s[2:3], 1
	v_cmp_gt_i64_e32 vcc_lo, s[0:1], v[0:1]
	s_add_u32 s2, s16, s2
	s_addc_u32 s3, s17, s3
	global_load_u16 v2, v1, s[2:3]
	s_waitcnt vmcnt(0)
	v_and_b32_e32 v3, 0x7fff, v2
	s_delay_alu instid0(VALU_DEP_1) | instskip(NEXT) | instid1(VALU_DEP_1)
	v_cmp_ne_u16_e64 s0, 0, v3
	s_and_b32 s0, vcc_lo, s0
	s_delay_alu instid0(SALU_CYCLE_1)
	s_and_saveexec_b32 s1, s0
	s_cbranch_execz .LBB121_10
; %bb.1:
	s_mul_i32 s1, s15, s25
	s_mul_hi_u32 s2, s15, s24
	s_mul_i32 s0, s15, s24
	s_add_i32 s1, s2, s1
	v_lshlrev_b64 v[0:1], 1, v[0:1]
	s_lshl_b64 s[0:1], s[0:1], 1
	v_and_b32_e32 v2, 0xffff, v2
	s_add_u32 s2, s20, s0
	s_addc_u32 s3, s21, s1
	s_lshl_b64 s[0:1], s[22:23], 1
	s_delay_alu instid0(SALU_CYCLE_1)
	s_add_u32 s0, s0, s2
	s_addc_u32 s1, s1, s3
	v_add_co_u32 v3, vcc_lo, s0, v0
	v_add_co_ci_u32_e32 v4, vcc_lo, s1, v1, vcc_lo
	v_lshlrev_b32_e32 v2, 16, v2
	global_load_u16 v3, v[3:4], off
	s_waitcnt vmcnt(0)
	v_lshlrev_b32_e32 v3, 16, v3
	s_delay_alu instid0(VALU_DEP_1) | instskip(NEXT) | instid1(VALU_DEP_1)
	v_mul_f32_e32 v3, v2, v3
	v_and_b32_e32 v2, 0x7f800000, v3
	s_delay_alu instid0(VALU_DEP_1) | instskip(SKIP_1) | instid1(SALU_CYCLE_1)
	v_cmp_ne_u32_e32 vcc_lo, 0x7f800000, v2
                                        ; implicit-def: $vgpr2
	s_and_saveexec_b32 s0, vcc_lo
	s_xor_b32 s0, exec_lo, s0
; %bb.2:
	v_bfe_u32 v2, v3, 16, 1
	s_delay_alu instid0(VALU_DEP_1)
	v_add3_u32 v2, v3, v2, 0x7fff
                                        ; implicit-def: $vgpr3
; %bb.3:
	s_and_not1_saveexec_b32 s0, s0
; %bb.4:
	v_and_b32_e32 v2, 0xffff, v3
	v_or_b32_e32 v4, 0x10000, v3
	s_delay_alu instid0(VALU_DEP_2) | instskip(NEXT) | instid1(VALU_DEP_2)
	v_cmp_eq_u32_e32 vcc_lo, 0, v2
	v_cndmask_b32_e32 v2, v4, v3, vcc_lo
; %bb.5:
	s_or_b32 exec_lo, exec_lo, s0
	s_mul_i32 s1, s15, s31
	s_mul_hi_u32 s2, s15, s30
	s_mul_i32 s0, s15, s30
	s_add_i32 s1, s2, s1
	v_and_b32_e32 v2, 0xffff0000, v2
	s_lshl_b64 s[0:1], s[0:1], 1
	s_delay_alu instid0(SALU_CYCLE_1) | instskip(SKIP_2) | instid1(SALU_CYCLE_1)
	s_add_u32 s2, s26, s0
	s_addc_u32 s3, s27, s1
	s_lshl_b64 s[0:1], s[28:29], 1
	s_add_u32 s0, s0, s2
	s_addc_u32 s1, s1, s3
	v_add_co_u32 v0, vcc_lo, s0, v0
	v_add_co_ci_u32_e32 v1, vcc_lo, s1, v1, vcc_lo
	global_load_u16 v3, v[0:1], off
	s_waitcnt vmcnt(0)
	v_lshlrev_b32_e32 v3, 16, v3
	s_delay_alu instid0(VALU_DEP_1) | instskip(NEXT) | instid1(VALU_DEP_1)
	v_add_f32_e32 v2, v2, v3
	v_and_b32_e32 v3, 0x7f800000, v2
	s_delay_alu instid0(VALU_DEP_1) | instskip(SKIP_1) | instid1(SALU_CYCLE_1)
	v_cmp_ne_u32_e32 vcc_lo, 0x7f800000, v3
                                        ; implicit-def: $vgpr3
	s_and_saveexec_b32 s0, vcc_lo
	s_xor_b32 s0, exec_lo, s0
; %bb.6:
	v_bfe_u32 v3, v2, 16, 1
	s_delay_alu instid0(VALU_DEP_1)
	v_add3_u32 v3, v2, v3, 0x7fff
                                        ; implicit-def: $vgpr2
; %bb.7:
	s_and_not1_saveexec_b32 s0, s0
; %bb.8:
	v_and_b32_e32 v3, 0xffff, v2
	v_or_b32_e32 v4, 0x10000, v2
	s_delay_alu instid0(VALU_DEP_2) | instskip(NEXT) | instid1(VALU_DEP_2)
	v_cmp_eq_u32_e32 vcc_lo, 0, v3
	v_cndmask_b32_e32 v3, v4, v2, vcc_lo
; %bb.9:
	s_or_b32 exec_lo, exec_lo, s0
	global_store_d16_hi_b16 v[0:1], v3, off
.LBB121_10:
	s_nop 0
	s_sendmsg sendmsg(MSG_DEALLOC_VGPRS)
	s_endpgm
	.section	.rodata,"a",@progbits
	.p2align	6, 0x0
	.amdhsa_kernel _ZL26rocblas_haxpy_mod_8_kernelILi256EPK16rocblas_bfloat16S2_PS0_EviT0_lT1_llT2_lli
		.amdhsa_group_segment_fixed_size 0
		.amdhsa_private_segment_fixed_size 0
		.amdhsa_kernarg_size 76
		.amdhsa_user_sgpr_count 14
		.amdhsa_user_sgpr_dispatch_ptr 0
		.amdhsa_user_sgpr_queue_ptr 0
		.amdhsa_user_sgpr_kernarg_segment_ptr 1
		.amdhsa_user_sgpr_dispatch_id 0
		.amdhsa_user_sgpr_private_segment_size 0
		.amdhsa_wavefront_size32 1
		.amdhsa_uses_dynamic_stack 0
		.amdhsa_enable_private_segment 0
		.amdhsa_system_sgpr_workgroup_id_x 1
		.amdhsa_system_sgpr_workgroup_id_y 0
		.amdhsa_system_sgpr_workgroup_id_z 1
		.amdhsa_system_sgpr_workgroup_info 0
		.amdhsa_system_vgpr_workitem_id 0
		.amdhsa_next_free_vgpr 5
		.amdhsa_next_free_sgpr 32
		.amdhsa_reserve_vcc 1
		.amdhsa_float_round_mode_32 0
		.amdhsa_float_round_mode_16_64 0
		.amdhsa_float_denorm_mode_32 3
		.amdhsa_float_denorm_mode_16_64 3
		.amdhsa_dx10_clamp 1
		.amdhsa_ieee_mode 1
		.amdhsa_fp16_overflow 0
		.amdhsa_workgroup_processor_mode 1
		.amdhsa_memory_ordered 1
		.amdhsa_forward_progress 0
		.amdhsa_shared_vgpr_count 0
		.amdhsa_exception_fp_ieee_invalid_op 0
		.amdhsa_exception_fp_denorm_src 0
		.amdhsa_exception_fp_ieee_div_zero 0
		.amdhsa_exception_fp_ieee_overflow 0
		.amdhsa_exception_fp_ieee_underflow 0
		.amdhsa_exception_fp_ieee_inexact 0
		.amdhsa_exception_int_div_zero 0
	.end_amdhsa_kernel
	.section	.text._ZL26rocblas_haxpy_mod_8_kernelILi256EPK16rocblas_bfloat16S2_PS0_EviT0_lT1_llT2_lli,"axG",@progbits,_ZL26rocblas_haxpy_mod_8_kernelILi256EPK16rocblas_bfloat16S2_PS0_EviT0_lT1_llT2_lli,comdat
.Lfunc_end121:
	.size	_ZL26rocblas_haxpy_mod_8_kernelILi256EPK16rocblas_bfloat16S2_PS0_EviT0_lT1_llT2_lli, .Lfunc_end121-_ZL26rocblas_haxpy_mod_8_kernelILi256EPK16rocblas_bfloat16S2_PS0_EviT0_lT1_llT2_lli
                                        ; -- End function
	.section	.AMDGPU.csdata,"",@progbits
; Kernel info:
; codeLenInByte = 508
; NumSgprs: 34
; NumVgprs: 5
; ScratchSize: 0
; MemoryBound: 0
; FloatMode: 240
; IeeeMode: 1
; LDSByteSize: 0 bytes/workgroup (compile time only)
; SGPRBlocks: 4
; VGPRBlocks: 0
; NumSGPRsForWavesPerEU: 34
; NumVGPRsForWavesPerEU: 5
; Occupancy: 16
; WaveLimiterHint : 0
; COMPUTE_PGM_RSRC2:SCRATCH_EN: 0
; COMPUTE_PGM_RSRC2:USER_SGPR: 14
; COMPUTE_PGM_RSRC2:TRAP_HANDLER: 0
; COMPUTE_PGM_RSRC2:TGID_X_EN: 1
; COMPUTE_PGM_RSRC2:TGID_Y_EN: 0
; COMPUTE_PGM_RSRC2:TGID_Z_EN: 1
; COMPUTE_PGM_RSRC2:TIDIG_COMP_CNT: 0
	.section	.text._ZL26rocblas_haxpy_mlt_8_kernelILi256EDF16_PK16rocblas_bfloat16PS0_EviT0_lT1_llT2_lli,"axG",@progbits,_ZL26rocblas_haxpy_mlt_8_kernelILi256EDF16_PK16rocblas_bfloat16PS0_EviT0_lT1_llT2_lli,comdat
	.globl	_ZL26rocblas_haxpy_mlt_8_kernelILi256EDF16_PK16rocblas_bfloat16PS0_EviT0_lT1_llT2_lli ; -- Begin function _ZL26rocblas_haxpy_mlt_8_kernelILi256EDF16_PK16rocblas_bfloat16PS0_EviT0_lT1_llT2_lli
	.p2align	8
	.type	_ZL26rocblas_haxpy_mlt_8_kernelILi256EDF16_PK16rocblas_bfloat16PS0_EviT0_lT1_llT2_lli,@function
_ZL26rocblas_haxpy_mlt_8_kernelILi256EDF16_PK16rocblas_bfloat16PS0_EviT0_lT1_llT2_lli: ; @_ZL26rocblas_haxpy_mlt_8_kernelILi256EDF16_PK16rocblas_bfloat16PS0_EviT0_lT1_llT2_lli
; %bb.0:
	s_load_b64 s[2:3], s[0:1], 0x0
	s_waitcnt lgkmcnt(0)
	s_pack_ll_b32_b16 s4, s3, s3
	s_delay_alu instid0(SALU_CYCLE_1) | instskip(NEXT) | instid1(SALU_CYCLE_1)
	s_and_b32 s4, s4, 0x7fff
	s_cmp_eq_u32 s4, 0
	s_cbranch_scc1 .LBB122_3
; %bb.1:
	v_lshl_or_b32 v0, s14, 8, v0
	v_mov_b32_e32 v1, 0
	s_ashr_i32 s5, s2, 31
	s_mov_b32 s4, s2
	s_mov_b32 s2, exec_lo
	s_delay_alu instid0(VALU_DEP_1) | instskip(NEXT) | instid1(VALU_DEP_1)
	v_lshlrev_b64 v[0:1], 3, v[0:1]
	v_cmpx_gt_i64_e64 s[4:5], v[0:1]
	s_cbranch_execz .LBB122_3
; %bb.2:
	s_clause 0x1
	s_load_b256 s[4:11], s[0:1], 0x10
	s_load_b128 s[16:19], s[0:1], 0x30
	v_lshlrev_b64 v[0:1], 1, v[0:1]
	s_waitcnt lgkmcnt(0)
	s_mul_i32 s1, s15, s9
	s_mul_hi_u32 s2, s15, s8
	s_mul_i32 s0, s15, s8
	s_add_i32 s1, s2, s1
	s_mul_i32 s2, s15, s19
	s_lshl_b64 s[0:1], s[0:1], 1
	s_mul_hi_u32 s8, s15, s18
	s_add_u32 s9, s4, s0
	s_addc_u32 s5, s5, s1
	s_lshl_b64 s[0:1], s[6:7], 1
	s_mul_i32 s4, s15, s18
	s_add_u32 s6, s0, s9
	s_addc_u32 s7, s1, s5
	s_add_i32 s5, s8, s2
	v_add_co_u32 v2, vcc_lo, s6, v0
	s_lshl_b64 s[0:1], s[4:5], 1
	v_add_co_ci_u32_e32 v3, vcc_lo, s7, v1, vcc_lo
	s_add_u32 s2, s10, s0
	s_addc_u32 s4, s11, s1
	s_lshl_b64 s[0:1], s[16:17], 1
	s_delay_alu instid0(SALU_CYCLE_1)
	s_add_u32 s0, s0, s2
	s_addc_u32 s1, s1, s4
	v_add_co_u32 v8, vcc_lo, s0, v0
	v_add_co_ci_u32_e32 v9, vcc_lo, s1, v1, vcc_lo
	global_load_b128 v[0:3], v[2:3], off
	global_load_b128 v[4:7], v[8:9], off
	s_waitcnt vmcnt(0)
	v_pk_fma_f16 v3, s3, v3, v7 op_sel_hi:[0,1,1]
	v_pk_fma_f16 v2, s3, v2, v6 op_sel_hi:[0,1,1]
	;; [unrolled: 1-line block ×4, first 2 shown]
	global_store_b128 v[8:9], v[0:3], off
.LBB122_3:
	s_nop 0
	s_sendmsg sendmsg(MSG_DEALLOC_VGPRS)
	s_endpgm
	.section	.rodata,"a",@progbits
	.p2align	6, 0x0
	.amdhsa_kernel _ZL26rocblas_haxpy_mlt_8_kernelILi256EDF16_PK16rocblas_bfloat16PS0_EviT0_lT1_llT2_lli
		.amdhsa_group_segment_fixed_size 0
		.amdhsa_private_segment_fixed_size 0
		.amdhsa_kernarg_size 68
		.amdhsa_user_sgpr_count 14
		.amdhsa_user_sgpr_dispatch_ptr 0
		.amdhsa_user_sgpr_queue_ptr 0
		.amdhsa_user_sgpr_kernarg_segment_ptr 1
		.amdhsa_user_sgpr_dispatch_id 0
		.amdhsa_user_sgpr_private_segment_size 0
		.amdhsa_wavefront_size32 1
		.amdhsa_uses_dynamic_stack 0
		.amdhsa_enable_private_segment 0
		.amdhsa_system_sgpr_workgroup_id_x 1
		.amdhsa_system_sgpr_workgroup_id_y 0
		.amdhsa_system_sgpr_workgroup_id_z 1
		.amdhsa_system_sgpr_workgroup_info 0
		.amdhsa_system_vgpr_workitem_id 0
		.amdhsa_next_free_vgpr 10
		.amdhsa_next_free_sgpr 20
		.amdhsa_reserve_vcc 1
		.amdhsa_float_round_mode_32 0
		.amdhsa_float_round_mode_16_64 0
		.amdhsa_float_denorm_mode_32 3
		.amdhsa_float_denorm_mode_16_64 3
		.amdhsa_dx10_clamp 1
		.amdhsa_ieee_mode 1
		.amdhsa_fp16_overflow 0
		.amdhsa_workgroup_processor_mode 1
		.amdhsa_memory_ordered 1
		.amdhsa_forward_progress 0
		.amdhsa_shared_vgpr_count 0
		.amdhsa_exception_fp_ieee_invalid_op 0
		.amdhsa_exception_fp_denorm_src 0
		.amdhsa_exception_fp_ieee_div_zero 0
		.amdhsa_exception_fp_ieee_overflow 0
		.amdhsa_exception_fp_ieee_underflow 0
		.amdhsa_exception_fp_ieee_inexact 0
		.amdhsa_exception_int_div_zero 0
	.end_amdhsa_kernel
	.section	.text._ZL26rocblas_haxpy_mlt_8_kernelILi256EDF16_PK16rocblas_bfloat16PS0_EviT0_lT1_llT2_lli,"axG",@progbits,_ZL26rocblas_haxpy_mlt_8_kernelILi256EDF16_PK16rocblas_bfloat16PS0_EviT0_lT1_llT2_lli,comdat
.Lfunc_end122:
	.size	_ZL26rocblas_haxpy_mlt_8_kernelILi256EDF16_PK16rocblas_bfloat16PS0_EviT0_lT1_llT2_lli, .Lfunc_end122-_ZL26rocblas_haxpy_mlt_8_kernelILi256EDF16_PK16rocblas_bfloat16PS0_EviT0_lT1_llT2_lli
                                        ; -- End function
	.section	.AMDGPU.csdata,"",@progbits
; Kernel info:
; codeLenInByte = 296
; NumSgprs: 22
; NumVgprs: 10
; ScratchSize: 0
; MemoryBound: 0
; FloatMode: 240
; IeeeMode: 1
; LDSByteSize: 0 bytes/workgroup (compile time only)
; SGPRBlocks: 2
; VGPRBlocks: 1
; NumSGPRsForWavesPerEU: 22
; NumVGPRsForWavesPerEU: 10
; Occupancy: 16
; WaveLimiterHint : 0
; COMPUTE_PGM_RSRC2:SCRATCH_EN: 0
; COMPUTE_PGM_RSRC2:USER_SGPR: 14
; COMPUTE_PGM_RSRC2:TRAP_HANDLER: 0
; COMPUTE_PGM_RSRC2:TGID_X_EN: 1
; COMPUTE_PGM_RSRC2:TGID_Y_EN: 0
; COMPUTE_PGM_RSRC2:TGID_Z_EN: 1
; COMPUTE_PGM_RSRC2:TIDIG_COMP_CNT: 0
	.section	.text._ZL26rocblas_haxpy_mod_8_kernelILi256E16rocblas_bfloat16PKS0_PS0_EviT0_lT1_llT2_lli,"axG",@progbits,_ZL26rocblas_haxpy_mod_8_kernelILi256E16rocblas_bfloat16PKS0_PS0_EviT0_lT1_llT2_lli,comdat
	.globl	_ZL26rocblas_haxpy_mod_8_kernelILi256E16rocblas_bfloat16PKS0_PS0_EviT0_lT1_llT2_lli ; -- Begin function _ZL26rocblas_haxpy_mod_8_kernelILi256E16rocblas_bfloat16PKS0_PS0_EviT0_lT1_llT2_lli
	.p2align	8
	.type	_ZL26rocblas_haxpy_mod_8_kernelILi256E16rocblas_bfloat16PKS0_PS0_EviT0_lT1_llT2_lli,@function
_ZL26rocblas_haxpy_mod_8_kernelILi256E16rocblas_bfloat16PKS0_PS0_EviT0_lT1_llT2_lli: ; @_ZL26rocblas_haxpy_mod_8_kernelILi256E16rocblas_bfloat16PKS0_PS0_EviT0_lT1_llT2_lli
; %bb.0:
	s_load_b64 s[2:3], s[0:1], 0x0
	v_lshl_or_b32 v0, s14, 8, v0
	v_mov_b32_e32 v1, 0
	s_waitcnt lgkmcnt(0)
	v_and_b32_e64 v2, 0x7fff, s3
	s_ashr_i32 s5, s2, 31
	s_mov_b32 s4, s2
	s_delay_alu instid0(SALU_CYCLE_1) | instskip(NEXT) | instid1(VALU_DEP_2)
	v_cmp_gt_i64_e32 vcc_lo, s[4:5], v[0:1]
	v_cmp_ne_u16_e64 s2, 0, v2
	s_delay_alu instid0(VALU_DEP_1) | instskip(NEXT) | instid1(SALU_CYCLE_1)
	s_and_b32 s2, vcc_lo, s2
	s_and_saveexec_b32 s4, s2
	s_cbranch_execz .LBB123_10
; %bb.1:
	s_load_b256 s[4:11], s[0:1], 0x10
	s_and_b32 s12, s3, 0xffff
	v_lshlrev_b64 v[0:1], 1, v[0:1]
	s_waitcnt lgkmcnt(0)
	s_mul_i32 s2, s15, s9
	s_mul_hi_u32 s9, s15, s8
	s_mul_i32 s8, s15, s8
	s_add_i32 s9, s9, s2
	s_delay_alu instid0(SALU_CYCLE_1) | instskip(NEXT) | instid1(SALU_CYCLE_1)
	s_lshl_b64 s[2:3], s[8:9], 1
	s_add_u32 s4, s4, s2
	s_addc_u32 s5, s5, s3
	s_lshl_b64 s[2:3], s[6:7], 1
	s_delay_alu instid0(SALU_CYCLE_1)
	s_add_u32 s2, s2, s4
	s_addc_u32 s3, s3, s5
	v_add_co_u32 v2, vcc_lo, s2, v0
	v_add_co_ci_u32_e32 v3, vcc_lo, s3, v1, vcc_lo
	s_load_b128 s[0:3], s[0:1], 0x30
	s_lshl_b32 s4, s12, 16
	global_load_u16 v2, v[2:3], off
	s_waitcnt vmcnt(0)
	v_lshlrev_b32_e32 v2, 16, v2
	s_delay_alu instid0(VALU_DEP_1) | instskip(NEXT) | instid1(VALU_DEP_1)
	v_mul_f32_e32 v3, s4, v2
	v_and_b32_e32 v2, 0x7f800000, v3
	s_delay_alu instid0(VALU_DEP_1) | instskip(SKIP_1) | instid1(SALU_CYCLE_1)
	v_cmp_ne_u32_e32 vcc_lo, 0x7f800000, v2
                                        ; implicit-def: $vgpr2
	s_and_saveexec_b32 s4, vcc_lo
	s_xor_b32 s4, exec_lo, s4
; %bb.2:
	v_bfe_u32 v2, v3, 16, 1
	s_delay_alu instid0(VALU_DEP_1)
	v_add3_u32 v2, v3, v2, 0x7fff
                                        ; implicit-def: $vgpr3
; %bb.3:
	s_and_not1_saveexec_b32 s4, s4
; %bb.4:
	v_and_b32_e32 v2, 0xffff, v3
	v_or_b32_e32 v4, 0x10000, v3
	s_delay_alu instid0(VALU_DEP_2) | instskip(NEXT) | instid1(VALU_DEP_2)
	v_cmp_eq_u32_e32 vcc_lo, 0, v2
	v_cndmask_b32_e32 v2, v4, v3, vcc_lo
; %bb.5:
	s_or_b32 exec_lo, exec_lo, s4
	s_waitcnt lgkmcnt(0)
	s_mul_i32 s3, s15, s3
	s_mul_hi_u32 s4, s15, s2
	s_mul_i32 s2, s15, s2
	s_add_i32 s3, s4, s3
	v_and_b32_e32 v2, 0xffff0000, v2
	s_lshl_b64 s[2:3], s[2:3], 1
	s_delay_alu instid0(SALU_CYCLE_1) | instskip(SKIP_2) | instid1(SALU_CYCLE_1)
	s_add_u32 s2, s10, s2
	s_addc_u32 s3, s11, s3
	s_lshl_b64 s[0:1], s[0:1], 1
	s_add_u32 s0, s0, s2
	s_addc_u32 s1, s1, s3
	v_add_co_u32 v0, vcc_lo, s0, v0
	v_add_co_ci_u32_e32 v1, vcc_lo, s1, v1, vcc_lo
	global_load_u16 v3, v[0:1], off
	s_waitcnt vmcnt(0)
	v_lshlrev_b32_e32 v3, 16, v3
	s_delay_alu instid0(VALU_DEP_1) | instskip(NEXT) | instid1(VALU_DEP_1)
	v_add_f32_e32 v2, v2, v3
	v_and_b32_e32 v3, 0x7f800000, v2
	s_delay_alu instid0(VALU_DEP_1) | instskip(SKIP_1) | instid1(SALU_CYCLE_1)
	v_cmp_ne_u32_e32 vcc_lo, 0x7f800000, v3
                                        ; implicit-def: $vgpr3
	s_and_saveexec_b32 s0, vcc_lo
	s_xor_b32 s0, exec_lo, s0
; %bb.6:
	v_bfe_u32 v3, v2, 16, 1
	s_delay_alu instid0(VALU_DEP_1)
	v_add3_u32 v3, v2, v3, 0x7fff
                                        ; implicit-def: $vgpr2
; %bb.7:
	s_and_not1_saveexec_b32 s0, s0
; %bb.8:
	v_and_b32_e32 v3, 0xffff, v2
	v_or_b32_e32 v4, 0x10000, v2
	s_delay_alu instid0(VALU_DEP_2) | instskip(NEXT) | instid1(VALU_DEP_2)
	v_cmp_eq_u32_e32 vcc_lo, 0, v3
	v_cndmask_b32_e32 v3, v4, v2, vcc_lo
; %bb.9:
	s_or_b32 exec_lo, exec_lo, s0
	global_store_d16_hi_b16 v[0:1], v3, off
.LBB123_10:
	s_nop 0
	s_sendmsg sendmsg(MSG_DEALLOC_VGPRS)
	s_endpgm
	.section	.rodata,"a",@progbits
	.p2align	6, 0x0
	.amdhsa_kernel _ZL26rocblas_haxpy_mod_8_kernelILi256E16rocblas_bfloat16PKS0_PS0_EviT0_lT1_llT2_lli
		.amdhsa_group_segment_fixed_size 0
		.amdhsa_private_segment_fixed_size 0
		.amdhsa_kernarg_size 68
		.amdhsa_user_sgpr_count 14
		.amdhsa_user_sgpr_dispatch_ptr 0
		.amdhsa_user_sgpr_queue_ptr 0
		.amdhsa_user_sgpr_kernarg_segment_ptr 1
		.amdhsa_user_sgpr_dispatch_id 0
		.amdhsa_user_sgpr_private_segment_size 0
		.amdhsa_wavefront_size32 1
		.amdhsa_uses_dynamic_stack 0
		.amdhsa_enable_private_segment 0
		.amdhsa_system_sgpr_workgroup_id_x 1
		.amdhsa_system_sgpr_workgroup_id_y 0
		.amdhsa_system_sgpr_workgroup_id_z 1
		.amdhsa_system_sgpr_workgroup_info 0
		.amdhsa_system_vgpr_workitem_id 0
		.amdhsa_next_free_vgpr 5
		.amdhsa_next_free_sgpr 16
		.amdhsa_reserve_vcc 1
		.amdhsa_float_round_mode_32 0
		.amdhsa_float_round_mode_16_64 0
		.amdhsa_float_denorm_mode_32 3
		.amdhsa_float_denorm_mode_16_64 3
		.amdhsa_dx10_clamp 1
		.amdhsa_ieee_mode 1
		.amdhsa_fp16_overflow 0
		.amdhsa_workgroup_processor_mode 1
		.amdhsa_memory_ordered 1
		.amdhsa_forward_progress 0
		.amdhsa_shared_vgpr_count 0
		.amdhsa_exception_fp_ieee_invalid_op 0
		.amdhsa_exception_fp_denorm_src 0
		.amdhsa_exception_fp_ieee_div_zero 0
		.amdhsa_exception_fp_ieee_overflow 0
		.amdhsa_exception_fp_ieee_underflow 0
		.amdhsa_exception_fp_ieee_inexact 0
		.amdhsa_exception_int_div_zero 0
	.end_amdhsa_kernel
	.section	.text._ZL26rocblas_haxpy_mod_8_kernelILi256E16rocblas_bfloat16PKS0_PS0_EviT0_lT1_llT2_lli,"axG",@progbits,_ZL26rocblas_haxpy_mod_8_kernelILi256E16rocblas_bfloat16PKS0_PS0_EviT0_lT1_llT2_lli,comdat
.Lfunc_end123:
	.size	_ZL26rocblas_haxpy_mod_8_kernelILi256E16rocblas_bfloat16PKS0_PS0_EviT0_lT1_llT2_lli, .Lfunc_end123-_ZL26rocblas_haxpy_mod_8_kernelILi256E16rocblas_bfloat16PKS0_PS0_EviT0_lT1_llT2_lli
                                        ; -- End function
	.section	.AMDGPU.csdata,"",@progbits
; Kernel info:
; codeLenInByte = 488
; NumSgprs: 18
; NumVgprs: 5
; ScratchSize: 0
; MemoryBound: 0
; FloatMode: 240
; IeeeMode: 1
; LDSByteSize: 0 bytes/workgroup (compile time only)
; SGPRBlocks: 2
; VGPRBlocks: 0
; NumSGPRsForWavesPerEU: 18
; NumVGPRsForWavesPerEU: 5
; Occupancy: 16
; WaveLimiterHint : 0
; COMPUTE_PGM_RSRC2:SCRATCH_EN: 0
; COMPUTE_PGM_RSRC2:USER_SGPR: 14
; COMPUTE_PGM_RSRC2:TRAP_HANDLER: 0
; COMPUTE_PGM_RSRC2:TGID_X_EN: 1
; COMPUTE_PGM_RSRC2:TGID_Y_EN: 0
; COMPUTE_PGM_RSRC2:TGID_Z_EN: 1
; COMPUTE_PGM_RSRC2:TIDIG_COMP_CNT: 0
	.section	.text._ZL22rocblas_saxpy_2_kernelILi256EfPK16rocblas_bfloat16S2_PS0_EviT1_lT2_llT3_lli,"axG",@progbits,_ZL22rocblas_saxpy_2_kernelILi256EfPK16rocblas_bfloat16S2_PS0_EviT1_lT2_llT3_lli,comdat
	.globl	_ZL22rocblas_saxpy_2_kernelILi256EfPK16rocblas_bfloat16S2_PS0_EviT1_lT2_llT3_lli ; -- Begin function _ZL22rocblas_saxpy_2_kernelILi256EfPK16rocblas_bfloat16S2_PS0_EviT1_lT2_llT3_lli
	.p2align	8
	.type	_ZL22rocblas_saxpy_2_kernelILi256EfPK16rocblas_bfloat16S2_PS0_EviT1_lT2_llT3_lli,@function
_ZL22rocblas_saxpy_2_kernelILi256EfPK16rocblas_bfloat16S2_PS0_EviT1_lT2_llT3_lli: ; @_ZL22rocblas_saxpy_2_kernelILi256EfPK16rocblas_bfloat16S2_PS0_EviT1_lT2_llT3_lli
; %bb.0:
	s_load_b128 s[4:7], s[0:1], 0x8
	v_mov_b32_e32 v1, 0
	s_waitcnt lgkmcnt(0)
	s_mul_i32 s3, s15, s7
	s_mul_hi_u32 s7, s15, s6
	s_mul_i32 s2, s15, s6
	s_add_i32 s3, s7, s3
	s_delay_alu instid0(SALU_CYCLE_1) | instskip(NEXT) | instid1(SALU_CYCLE_1)
	s_lshl_b64 s[2:3], s[2:3], 1
	s_add_u32 s2, s4, s2
	s_addc_u32 s3, s5, s3
	global_load_u16 v2, v1, s[2:3]
	s_waitcnt vmcnt(0)
	v_and_b32_e32 v3, 0x7fff, v2
	s_delay_alu instid0(VALU_DEP_1)
	v_cmp_eq_u16_e32 vcc_lo, 0, v3
	s_cbranch_vccnz .LBB124_29
; %bb.1:
	s_clause 0x4
	s_load_b128 s[4:7], s[0:1], 0x20
	s_load_b128 s[8:11], s[0:1], 0x38
	s_load_b64 s[12:13], s[0:1], 0x18
	s_load_b64 s[16:17], s[0:1], 0x30
	s_load_b32 s2, s[0:1], 0x0
	v_lshlrev_b32_e32 v0, 1, v0
	v_and_b32_e32 v4, 0xffff, v2
	s_delay_alu instid0(VALU_DEP_2) | instskip(NEXT) | instid1(VALU_DEP_2)
	v_lshl_or_b32 v0, s14, 9, v0
	v_lshlrev_b32_e32 v8, 16, v4
	s_delay_alu instid0(VALU_DEP_2)
	v_lshlrev_b64 v[2:3], 1, v[0:1]
	s_waitcnt lgkmcnt(0)
	s_mul_i32 s1, s15, s7
	s_mul_hi_u32 s3, s15, s6
	s_mul_i32 s0, s15, s6
	s_add_i32 s1, s3, s1
	s_mul_i32 s7, s15, s11
	s_lshl_b64 s[0:1], s[0:1], 1
	s_mul_hi_u32 s11, s15, s10
	s_add_u32 s3, s12, s0
	s_addc_u32 s12, s13, s1
	s_lshl_b64 s[0:1], s[4:5], 1
	s_mul_i32 s6, s15, s10
	s_add_u32 s3, s3, s0
	s_addc_u32 s4, s12, s1
	s_add_i32 s7, s11, s7
	s_delay_alu instid0(SALU_CYCLE_1) | instskip(SKIP_4) | instid1(SALU_CYCLE_1)
	s_lshl_b64 s[0:1], s[6:7], 1
	s_mov_b32 s7, exec_lo
	s_add_u32 s5, s16, s0
	s_addc_u32 s6, s17, s1
	s_lshl_b64 s[0:1], s[8:9], 1
	s_add_u32 s5, s5, s0
	s_addc_u32 s6, s6, s1
	s_add_i32 s0, s2, -1
	s_delay_alu instid0(SALU_CYCLE_1) | instskip(NEXT) | instid1(SALU_CYCLE_1)
	s_ashr_i32 s1, s0, 31
	v_cmpx_gt_i64_e64 s[0:1], v[0:1]
	s_cbranch_execz .LBB124_19
; %bb.2:
	v_add_co_u32 v6, vcc_lo, s3, v2
	v_add_co_ci_u32_e32 v7, vcc_lo, s4, v3, vcc_lo
	v_add_co_u32 v4, vcc_lo, s5, v2
	v_add_co_ci_u32_e32 v5, vcc_lo, s6, v3, vcc_lo
	global_load_u16 v10, v[6:7], off
	global_load_u16 v9, v[4:5], off
	s_waitcnt vmcnt(1)
	v_lshlrev_b32_e32 v10, 16, v10
	s_delay_alu instid0(VALU_DEP_1) | instskip(NEXT) | instid1(VALU_DEP_1)
	v_mul_f32_e32 v10, v8, v10
	v_and_b32_e32 v11, 0x7f800000, v10
	s_delay_alu instid0(VALU_DEP_1) | instskip(SKIP_1) | instid1(SALU_CYCLE_1)
	v_cmp_ne_u32_e32 vcc_lo, 0x7f800000, v11
                                        ; implicit-def: $vgpr11
	s_and_saveexec_b32 s8, vcc_lo
	s_xor_b32 s8, exec_lo, s8
; %bb.3:
	v_bfe_u32 v11, v10, 16, 1
	s_delay_alu instid0(VALU_DEP_1)
	v_add3_u32 v11, v10, v11, 0x7fff
                                        ; implicit-def: $vgpr10
; %bb.4:
	s_and_not1_saveexec_b32 s8, s8
; %bb.5:
	v_and_b32_e32 v11, 0xffff, v10
	v_or_b32_e32 v12, 0x10000, v10
	s_delay_alu instid0(VALU_DEP_2) | instskip(NEXT) | instid1(VALU_DEP_2)
	v_cmp_eq_u32_e32 vcc_lo, 0, v11
	v_cndmask_b32_e32 v11, v12, v10, vcc_lo
; %bb.6:
	s_or_b32 exec_lo, exec_lo, s8
	s_delay_alu instid0(VALU_DEP_1) | instskip(SKIP_2) | instid1(VALU_DEP_1)
	v_and_b32_e32 v10, 0xffff0000, v11
	s_waitcnt vmcnt(0)
	v_lshlrev_b32_e32 v9, 16, v9
	v_add_f32_e32 v10, v9, v10
	s_delay_alu instid0(VALU_DEP_1) | instskip(NEXT) | instid1(VALU_DEP_1)
	v_and_b32_e32 v9, 0x7f800000, v10
	v_cmp_ne_u32_e32 vcc_lo, 0x7f800000, v9
                                        ; implicit-def: $vgpr9
	s_and_saveexec_b32 s8, vcc_lo
	s_delay_alu instid0(SALU_CYCLE_1)
	s_xor_b32 s8, exec_lo, s8
; %bb.7:
	v_bfe_u32 v9, v10, 16, 1
	s_delay_alu instid0(VALU_DEP_1)
	v_add3_u32 v9, v10, v9, 0x7fff
                                        ; implicit-def: $vgpr10
; %bb.8:
	s_and_not1_saveexec_b32 s8, s8
; %bb.9:
	v_and_b32_e32 v9, 0xffff, v10
	v_or_b32_e32 v11, 0x10000, v10
	s_delay_alu instid0(VALU_DEP_2) | instskip(NEXT) | instid1(VALU_DEP_2)
	v_cmp_eq_u32_e32 vcc_lo, 0, v9
	v_cndmask_b32_e32 v9, v11, v10, vcc_lo
; %bb.10:
	s_or_b32 exec_lo, exec_lo, s8
	global_load_u16 v7, v[6:7], off offset:2
	global_load_u16 v6, v[4:5], off offset:2
	s_mov_b32 s8, exec_lo
	global_store_d16_hi_b16 v[4:5], v9, off
                                        ; implicit-def: $vgpr9
	s_waitcnt vmcnt(1)
	v_lshlrev_b32_e32 v7, 16, v7
	s_delay_alu instid0(VALU_DEP_1) | instskip(NEXT) | instid1(VALU_DEP_1)
	v_mul_f32_e32 v7, v8, v7
	v_and_b32_e32 v10, 0x7f800000, v7
	s_delay_alu instid0(VALU_DEP_1)
	v_cmpx_ne_u32_e32 0x7f800000, v10
	s_xor_b32 s8, exec_lo, s8
; %bb.11:
	v_bfe_u32 v9, v7, 16, 1
	s_delay_alu instid0(VALU_DEP_1)
	v_add3_u32 v9, v7, v9, 0x7fff
                                        ; implicit-def: $vgpr7
; %bb.12:
	s_and_not1_saveexec_b32 s8, s8
; %bb.13:
	v_and_b32_e32 v9, 0xffff, v7
	v_or_b32_e32 v10, 0x10000, v7
	s_delay_alu instid0(VALU_DEP_2) | instskip(NEXT) | instid1(VALU_DEP_2)
	v_cmp_eq_u32_e32 vcc_lo, 0, v9
	v_cndmask_b32_e32 v9, v10, v7, vcc_lo
; %bb.14:
	s_or_b32 exec_lo, exec_lo, s8
	s_delay_alu instid0(VALU_DEP_1) | instskip(SKIP_2) | instid1(VALU_DEP_1)
	v_and_b32_e32 v7, 0xffff0000, v9
	s_waitcnt vmcnt(0)
	v_lshlrev_b32_e32 v6, 16, v6
	v_add_f32_e32 v6, v6, v7
	s_delay_alu instid0(VALU_DEP_1) | instskip(NEXT) | instid1(VALU_DEP_1)
	v_and_b32_e32 v7, 0x7f800000, v6
	v_cmp_ne_u32_e32 vcc_lo, 0x7f800000, v7
                                        ; implicit-def: $vgpr7
	s_and_saveexec_b32 s8, vcc_lo
	s_delay_alu instid0(SALU_CYCLE_1)
	s_xor_b32 s8, exec_lo, s8
; %bb.15:
	v_bfe_u32 v7, v6, 16, 1
	s_delay_alu instid0(VALU_DEP_1)
	v_add3_u32 v7, v6, v7, 0x7fff
                                        ; implicit-def: $vgpr6
; %bb.16:
	s_and_not1_saveexec_b32 s8, s8
; %bb.17:
	v_and_b32_e32 v7, 0xffff, v6
	v_or_b32_e32 v9, 0x10000, v6
	s_delay_alu instid0(VALU_DEP_2) | instskip(NEXT) | instid1(VALU_DEP_2)
	v_cmp_eq_u32_e32 vcc_lo, 0, v7
	v_cndmask_b32_e32 v7, v9, v6, vcc_lo
; %bb.18:
	s_or_b32 exec_lo, exec_lo, s8
	global_store_d16_hi_b16 v[4:5], v7, off offset:2
.LBB124_19:
	s_or_b32 exec_lo, exec_lo, s7
	v_cmp_eq_u64_e32 vcc_lo, s[0:1], v[0:1]
	s_bitcmp1_b32 s2, 0
	s_cselect_b32 s0, -1, 0
	s_delay_alu instid0(SALU_CYCLE_1) | instskip(NEXT) | instid1(SALU_CYCLE_1)
	s_and_b32 s0, s0, vcc_lo
	s_and_saveexec_b32 s1, s0
	s_cbranch_execz .LBB124_29
; %bb.20:
	v_add_co_u32 v0, vcc_lo, s3, v2
	v_add_co_ci_u32_e32 v1, vcc_lo, s4, v3, vcc_lo
	global_load_u16 v4, v[0:1], off
	v_add_co_u32 v0, vcc_lo, s5, v2
	v_add_co_ci_u32_e32 v1, vcc_lo, s6, v3, vcc_lo
	global_load_u16 v2, v[0:1], off
	s_waitcnt vmcnt(1)
	v_lshlrev_b32_e32 v3, 16, v4
	s_delay_alu instid0(VALU_DEP_1) | instskip(NEXT) | instid1(VALU_DEP_1)
	v_mul_f32_e32 v3, v8, v3
	v_and_b32_e32 v4, 0x7f800000, v3
	s_delay_alu instid0(VALU_DEP_1) | instskip(SKIP_1) | instid1(SALU_CYCLE_1)
	v_cmp_ne_u32_e32 vcc_lo, 0x7f800000, v4
                                        ; implicit-def: $vgpr4
	s_and_saveexec_b32 s0, vcc_lo
	s_xor_b32 s0, exec_lo, s0
; %bb.21:
	v_bfe_u32 v4, v3, 16, 1
	s_delay_alu instid0(VALU_DEP_1)
	v_add3_u32 v4, v3, v4, 0x7fff
                                        ; implicit-def: $vgpr3
; %bb.22:
	s_and_not1_saveexec_b32 s0, s0
; %bb.23:
	v_and_b32_e32 v4, 0xffff, v3
	v_or_b32_e32 v5, 0x10000, v3
	s_delay_alu instid0(VALU_DEP_2) | instskip(NEXT) | instid1(VALU_DEP_2)
	v_cmp_eq_u32_e32 vcc_lo, 0, v4
	v_cndmask_b32_e32 v4, v5, v3, vcc_lo
; %bb.24:
	s_or_b32 exec_lo, exec_lo, s0
	s_delay_alu instid0(VALU_DEP_1) | instskip(SKIP_2) | instid1(VALU_DEP_1)
	v_and_b32_e32 v3, 0xffff0000, v4
	s_waitcnt vmcnt(0)
	v_lshlrev_b32_e32 v2, 16, v2
	v_add_f32_e32 v2, v2, v3
	s_delay_alu instid0(VALU_DEP_1) | instskip(NEXT) | instid1(VALU_DEP_1)
	v_and_b32_e32 v3, 0x7f800000, v2
	v_cmp_ne_u32_e32 vcc_lo, 0x7f800000, v3
                                        ; implicit-def: $vgpr3
	s_and_saveexec_b32 s0, vcc_lo
	s_delay_alu instid0(SALU_CYCLE_1)
	s_xor_b32 s0, exec_lo, s0
; %bb.25:
	v_bfe_u32 v3, v2, 16, 1
	s_delay_alu instid0(VALU_DEP_1)
	v_add3_u32 v3, v2, v3, 0x7fff
                                        ; implicit-def: $vgpr2
; %bb.26:
	s_and_not1_saveexec_b32 s0, s0
; %bb.27:
	v_and_b32_e32 v3, 0xffff, v2
	v_or_b32_e32 v4, 0x10000, v2
	s_delay_alu instid0(VALU_DEP_2) | instskip(NEXT) | instid1(VALU_DEP_2)
	v_cmp_eq_u32_e32 vcc_lo, 0, v3
	v_cndmask_b32_e32 v3, v4, v2, vcc_lo
; %bb.28:
	s_or_b32 exec_lo, exec_lo, s0
	global_store_d16_hi_b16 v[0:1], v3, off
.LBB124_29:
	s_nop 0
	s_sendmsg sendmsg(MSG_DEALLOC_VGPRS)
	s_endpgm
	.section	.rodata,"a",@progbits
	.p2align	6, 0x0
	.amdhsa_kernel _ZL22rocblas_saxpy_2_kernelILi256EfPK16rocblas_bfloat16S2_PS0_EviT1_lT2_llT3_lli
		.amdhsa_group_segment_fixed_size 0
		.amdhsa_private_segment_fixed_size 0
		.amdhsa_kernarg_size 76
		.amdhsa_user_sgpr_count 14
		.amdhsa_user_sgpr_dispatch_ptr 0
		.amdhsa_user_sgpr_queue_ptr 0
		.amdhsa_user_sgpr_kernarg_segment_ptr 1
		.amdhsa_user_sgpr_dispatch_id 0
		.amdhsa_user_sgpr_private_segment_size 0
		.amdhsa_wavefront_size32 1
		.amdhsa_uses_dynamic_stack 0
		.amdhsa_enable_private_segment 0
		.amdhsa_system_sgpr_workgroup_id_x 1
		.amdhsa_system_sgpr_workgroup_id_y 0
		.amdhsa_system_sgpr_workgroup_id_z 1
		.amdhsa_system_sgpr_workgroup_info 0
		.amdhsa_system_vgpr_workitem_id 0
		.amdhsa_next_free_vgpr 13
		.amdhsa_next_free_sgpr 18
		.amdhsa_reserve_vcc 1
		.amdhsa_float_round_mode_32 0
		.amdhsa_float_round_mode_16_64 0
		.amdhsa_float_denorm_mode_32 3
		.amdhsa_float_denorm_mode_16_64 3
		.amdhsa_dx10_clamp 1
		.amdhsa_ieee_mode 1
		.amdhsa_fp16_overflow 0
		.amdhsa_workgroup_processor_mode 1
		.amdhsa_memory_ordered 1
		.amdhsa_forward_progress 0
		.amdhsa_shared_vgpr_count 0
		.amdhsa_exception_fp_ieee_invalid_op 0
		.amdhsa_exception_fp_denorm_src 0
		.amdhsa_exception_fp_ieee_div_zero 0
		.amdhsa_exception_fp_ieee_overflow 0
		.amdhsa_exception_fp_ieee_underflow 0
		.amdhsa_exception_fp_ieee_inexact 0
		.amdhsa_exception_int_div_zero 0
	.end_amdhsa_kernel
	.section	.text._ZL22rocblas_saxpy_2_kernelILi256EfPK16rocblas_bfloat16S2_PS0_EviT1_lT2_llT3_lli,"axG",@progbits,_ZL22rocblas_saxpy_2_kernelILi256EfPK16rocblas_bfloat16S2_PS0_EviT1_lT2_llT3_lli,comdat
.Lfunc_end124:
	.size	_ZL22rocblas_saxpy_2_kernelILi256EfPK16rocblas_bfloat16S2_PS0_EviT1_lT2_llT3_lli, .Lfunc_end124-_ZL22rocblas_saxpy_2_kernelILi256EfPK16rocblas_bfloat16S2_PS0_EviT1_lT2_llT3_lli
                                        ; -- End function
	.section	.AMDGPU.csdata,"",@progbits
; Kernel info:
; codeLenInByte = 1104
; NumSgprs: 20
; NumVgprs: 13
; ScratchSize: 0
; MemoryBound: 0
; FloatMode: 240
; IeeeMode: 1
; LDSByteSize: 0 bytes/workgroup (compile time only)
; SGPRBlocks: 2
; VGPRBlocks: 1
; NumSGPRsForWavesPerEU: 20
; NumVGPRsForWavesPerEU: 13
; Occupancy: 16
; WaveLimiterHint : 0
; COMPUTE_PGM_RSRC2:SCRATCH_EN: 0
; COMPUTE_PGM_RSRC2:USER_SGPR: 14
; COMPUTE_PGM_RSRC2:TRAP_HANDLER: 0
; COMPUTE_PGM_RSRC2:TGID_X_EN: 1
; COMPUTE_PGM_RSRC2:TGID_Y_EN: 0
; COMPUTE_PGM_RSRC2:TGID_Z_EN: 1
; COMPUTE_PGM_RSRC2:TIDIG_COMP_CNT: 0
	.section	.text._ZL22rocblas_saxpy_2_kernelILi256Ef16rocblas_bfloat16PKS0_PS0_EviT1_lT2_llT3_lli,"axG",@progbits,_ZL22rocblas_saxpy_2_kernelILi256Ef16rocblas_bfloat16PKS0_PS0_EviT1_lT2_llT3_lli,comdat
	.globl	_ZL22rocblas_saxpy_2_kernelILi256Ef16rocblas_bfloat16PKS0_PS0_EviT1_lT2_llT3_lli ; -- Begin function _ZL22rocblas_saxpy_2_kernelILi256Ef16rocblas_bfloat16PKS0_PS0_EviT1_lT2_llT3_lli
	.p2align	8
	.type	_ZL22rocblas_saxpy_2_kernelILi256Ef16rocblas_bfloat16PKS0_PS0_EviT1_lT2_llT3_lli,@function
_ZL22rocblas_saxpy_2_kernelILi256Ef16rocblas_bfloat16PKS0_PS0_EviT1_lT2_llT3_lli: ; @_ZL22rocblas_saxpy_2_kernelILi256Ef16rocblas_bfloat16PKS0_PS0_EviT1_lT2_llT3_lli
; %bb.0:
	s_load_b64 s[2:3], s[0:1], 0x0
	s_waitcnt lgkmcnt(0)
	v_and_b32_e64 v1, 0x7fff, s3
	s_delay_alu instid0(VALU_DEP_1)
	v_cmp_eq_u16_e32 vcc_lo, 0, v1
	s_cbranch_vccnz .LBB125_29
; %bb.1:
	s_clause 0x3
	s_load_b128 s[4:7], s[0:1], 0x18
	s_load_b128 s[8:11], s[0:1], 0x30
	s_load_b64 s[12:13], s[0:1], 0x10
	s_load_b64 s[0:1], s[0:1], 0x28
	s_and_b32 s3, s3, 0xffff
	v_dual_mov_b32 v3, 0 :: v_dual_lshlrev_b32 v0, 1, v0
	s_delay_alu instid0(VALU_DEP_1) | instskip(NEXT) | instid1(VALU_DEP_1)
	v_lshl_or_b32 v2, s14, 9, v0
	v_lshlrev_b64 v[0:1], 1, v[2:3]
	s_waitcnt lgkmcnt(0)
	s_mul_i32 s7, s15, s7
	s_mul_hi_u32 s16, s15, s6
	s_mul_i32 s6, s15, s6
	s_add_i32 s7, s16, s7
	s_mul_i32 s11, s15, s11
	s_lshl_b64 s[6:7], s[6:7], 1
	s_mul_hi_u32 s16, s15, s10
	s_add_u32 s12, s12, s6
	s_addc_u32 s7, s13, s7
	s_lshl_b64 s[4:5], s[4:5], 1
	s_mul_i32 s6, s15, s10
	s_add_u32 s4, s12, s4
	s_addc_u32 s5, s7, s5
	s_add_i32 s7, s16, s11
	s_delay_alu instid0(SALU_CYCLE_1) | instskip(NEXT) | instid1(SALU_CYCLE_1)
	s_lshl_b64 s[6:7], s[6:7], 1
	s_add_u32 s6, s0, s6
	s_addc_u32 s7, s1, s7
	s_lshl_b64 s[0:1], s[8:9], 1
	s_mov_b32 s8, exec_lo
	s_add_u32 s6, s6, s0
	s_addc_u32 s7, s7, s1
	s_add_i32 s0, s2, -1
	s_delay_alu instid0(SALU_CYCLE_1) | instskip(NEXT) | instid1(SALU_CYCLE_1)
	s_ashr_i32 s1, s0, 31
	v_cmpx_gt_i64_e64 s[0:1], v[2:3]
	s_cbranch_execz .LBB125_19
; %bb.2:
	v_add_co_u32 v6, vcc_lo, s4, v0
	v_add_co_ci_u32_e32 v7, vcc_lo, s5, v1, vcc_lo
	v_add_co_u32 v4, vcc_lo, s6, v0
	v_add_co_ci_u32_e32 v5, vcc_lo, s7, v1, vcc_lo
	global_load_u16 v9, v[6:7], off
	s_lshl_b32 s9, s3, 16
	global_load_u16 v8, v[4:5], off
	s_waitcnt vmcnt(1)
	v_lshlrev_b32_e32 v9, 16, v9
	s_delay_alu instid0(VALU_DEP_1) | instskip(NEXT) | instid1(VALU_DEP_1)
	v_mul_f32_e32 v9, s9, v9
	v_and_b32_e32 v10, 0x7f800000, v9
	s_delay_alu instid0(VALU_DEP_1) | instskip(SKIP_1) | instid1(SALU_CYCLE_1)
	v_cmp_ne_u32_e32 vcc_lo, 0x7f800000, v10
                                        ; implicit-def: $vgpr10
	s_and_saveexec_b32 s10, vcc_lo
	s_xor_b32 s10, exec_lo, s10
; %bb.3:
	v_bfe_u32 v10, v9, 16, 1
	s_delay_alu instid0(VALU_DEP_1)
	v_add3_u32 v10, v9, v10, 0x7fff
                                        ; implicit-def: $vgpr9
; %bb.4:
	s_and_not1_saveexec_b32 s10, s10
; %bb.5:
	v_and_b32_e32 v10, 0xffff, v9
	v_or_b32_e32 v11, 0x10000, v9
	s_delay_alu instid0(VALU_DEP_2) | instskip(NEXT) | instid1(VALU_DEP_2)
	v_cmp_eq_u32_e32 vcc_lo, 0, v10
	v_cndmask_b32_e32 v10, v11, v9, vcc_lo
; %bb.6:
	s_or_b32 exec_lo, exec_lo, s10
	s_delay_alu instid0(VALU_DEP_1) | instskip(SKIP_2) | instid1(VALU_DEP_1)
	v_and_b32_e32 v9, 0xffff0000, v10
	s_waitcnt vmcnt(0)
	v_lshlrev_b32_e32 v8, 16, v8
	v_add_f32_e32 v9, v8, v9
	s_delay_alu instid0(VALU_DEP_1) | instskip(NEXT) | instid1(VALU_DEP_1)
	v_and_b32_e32 v8, 0x7f800000, v9
	v_cmp_ne_u32_e32 vcc_lo, 0x7f800000, v8
                                        ; implicit-def: $vgpr8
	s_and_saveexec_b32 s10, vcc_lo
	s_delay_alu instid0(SALU_CYCLE_1)
	s_xor_b32 s10, exec_lo, s10
; %bb.7:
	v_bfe_u32 v8, v9, 16, 1
	s_delay_alu instid0(VALU_DEP_1)
	v_add3_u32 v8, v9, v8, 0x7fff
                                        ; implicit-def: $vgpr9
; %bb.8:
	s_and_not1_saveexec_b32 s10, s10
; %bb.9:
	v_and_b32_e32 v8, 0xffff, v9
	v_or_b32_e32 v10, 0x10000, v9
	s_delay_alu instid0(VALU_DEP_2) | instskip(NEXT) | instid1(VALU_DEP_2)
	v_cmp_eq_u32_e32 vcc_lo, 0, v8
	v_cndmask_b32_e32 v8, v10, v9, vcc_lo
; %bb.10:
	s_or_b32 exec_lo, exec_lo, s10
	global_load_u16 v7, v[6:7], off offset:2
	global_load_u16 v6, v[4:5], off offset:2
	global_store_d16_hi_b16 v[4:5], v8, off
                                        ; implicit-def: $vgpr8
	s_waitcnt vmcnt(1)
	v_lshlrev_b32_e32 v7, 16, v7
	s_delay_alu instid0(VALU_DEP_1) | instskip(SKIP_1) | instid1(VALU_DEP_1)
	v_mul_f32_e32 v7, s9, v7
	s_mov_b32 s9, exec_lo
	v_and_b32_e32 v9, 0x7f800000, v7
	s_delay_alu instid0(VALU_DEP_1)
	v_cmpx_ne_u32_e32 0x7f800000, v9
	s_xor_b32 s9, exec_lo, s9
; %bb.11:
	v_bfe_u32 v8, v7, 16, 1
	s_delay_alu instid0(VALU_DEP_1)
	v_add3_u32 v8, v7, v8, 0x7fff
                                        ; implicit-def: $vgpr7
; %bb.12:
	s_and_not1_saveexec_b32 s9, s9
; %bb.13:
	v_and_b32_e32 v8, 0xffff, v7
	v_or_b32_e32 v9, 0x10000, v7
	s_delay_alu instid0(VALU_DEP_2) | instskip(NEXT) | instid1(VALU_DEP_2)
	v_cmp_eq_u32_e32 vcc_lo, 0, v8
	v_cndmask_b32_e32 v8, v9, v7, vcc_lo
; %bb.14:
	s_or_b32 exec_lo, exec_lo, s9
	s_delay_alu instid0(VALU_DEP_1) | instskip(SKIP_2) | instid1(VALU_DEP_1)
	v_and_b32_e32 v7, 0xffff0000, v8
	s_waitcnt vmcnt(0)
	v_lshlrev_b32_e32 v6, 16, v6
	v_add_f32_e32 v6, v6, v7
	s_delay_alu instid0(VALU_DEP_1) | instskip(NEXT) | instid1(VALU_DEP_1)
	v_and_b32_e32 v7, 0x7f800000, v6
	v_cmp_ne_u32_e32 vcc_lo, 0x7f800000, v7
                                        ; implicit-def: $vgpr7
	s_and_saveexec_b32 s9, vcc_lo
	s_delay_alu instid0(SALU_CYCLE_1)
	s_xor_b32 s9, exec_lo, s9
; %bb.15:
	v_bfe_u32 v7, v6, 16, 1
	s_delay_alu instid0(VALU_DEP_1)
	v_add3_u32 v7, v6, v7, 0x7fff
                                        ; implicit-def: $vgpr6
; %bb.16:
	s_and_not1_saveexec_b32 s9, s9
; %bb.17:
	v_and_b32_e32 v7, 0xffff, v6
	v_or_b32_e32 v8, 0x10000, v6
	s_delay_alu instid0(VALU_DEP_2) | instskip(NEXT) | instid1(VALU_DEP_2)
	v_cmp_eq_u32_e32 vcc_lo, 0, v7
	v_cndmask_b32_e32 v7, v8, v6, vcc_lo
; %bb.18:
	s_or_b32 exec_lo, exec_lo, s9
	global_store_d16_hi_b16 v[4:5], v7, off offset:2
.LBB125_19:
	s_or_b32 exec_lo, exec_lo, s8
	v_cmp_eq_u64_e32 vcc_lo, s[0:1], v[2:3]
	s_bitcmp1_b32 s2, 0
	s_cselect_b32 s0, -1, 0
	s_delay_alu instid0(SALU_CYCLE_1) | instskip(NEXT) | instid1(SALU_CYCLE_1)
	s_and_b32 s0, s0, vcc_lo
	s_and_saveexec_b32 s1, s0
	s_cbranch_execz .LBB125_29
; %bb.20:
	v_add_co_u32 v2, vcc_lo, s4, v0
	v_add_co_ci_u32_e32 v3, vcc_lo, s5, v1, vcc_lo
	v_add_co_u32 v0, vcc_lo, s6, v0
	v_add_co_ci_u32_e32 v1, vcc_lo, s7, v1, vcc_lo
	global_load_u16 v3, v[2:3], off
	s_lshl_b32 s0, s3, 16
	global_load_u16 v2, v[0:1], off
	s_waitcnt vmcnt(1)
	v_lshlrev_b32_e32 v3, 16, v3
	s_delay_alu instid0(VALU_DEP_1) | instskip(NEXT) | instid1(VALU_DEP_1)
	v_mul_f32_e32 v3, s0, v3
	v_and_b32_e32 v4, 0x7f800000, v3
	s_delay_alu instid0(VALU_DEP_1) | instskip(SKIP_1) | instid1(SALU_CYCLE_1)
	v_cmp_ne_u32_e32 vcc_lo, 0x7f800000, v4
                                        ; implicit-def: $vgpr4
	s_and_saveexec_b32 s0, vcc_lo
	s_xor_b32 s0, exec_lo, s0
; %bb.21:
	v_bfe_u32 v4, v3, 16, 1
	s_delay_alu instid0(VALU_DEP_1)
	v_add3_u32 v4, v3, v4, 0x7fff
                                        ; implicit-def: $vgpr3
; %bb.22:
	s_and_not1_saveexec_b32 s0, s0
; %bb.23:
	v_and_b32_e32 v4, 0xffff, v3
	v_or_b32_e32 v5, 0x10000, v3
	s_delay_alu instid0(VALU_DEP_2) | instskip(NEXT) | instid1(VALU_DEP_2)
	v_cmp_eq_u32_e32 vcc_lo, 0, v4
	v_cndmask_b32_e32 v4, v5, v3, vcc_lo
; %bb.24:
	s_or_b32 exec_lo, exec_lo, s0
	s_delay_alu instid0(VALU_DEP_1) | instskip(SKIP_2) | instid1(VALU_DEP_1)
	v_and_b32_e32 v3, 0xffff0000, v4
	s_waitcnt vmcnt(0)
	v_lshlrev_b32_e32 v2, 16, v2
	v_add_f32_e32 v2, v2, v3
	s_delay_alu instid0(VALU_DEP_1) | instskip(NEXT) | instid1(VALU_DEP_1)
	v_and_b32_e32 v3, 0x7f800000, v2
	v_cmp_ne_u32_e32 vcc_lo, 0x7f800000, v3
                                        ; implicit-def: $vgpr3
	s_and_saveexec_b32 s0, vcc_lo
	s_delay_alu instid0(SALU_CYCLE_1)
	s_xor_b32 s0, exec_lo, s0
; %bb.25:
	v_bfe_u32 v3, v2, 16, 1
	s_delay_alu instid0(VALU_DEP_1)
	v_add3_u32 v3, v2, v3, 0x7fff
                                        ; implicit-def: $vgpr2
; %bb.26:
	s_and_not1_saveexec_b32 s0, s0
; %bb.27:
	v_and_b32_e32 v3, 0xffff, v2
	v_or_b32_e32 v4, 0x10000, v2
	s_delay_alu instid0(VALU_DEP_2) | instskip(NEXT) | instid1(VALU_DEP_2)
	v_cmp_eq_u32_e32 vcc_lo, 0, v3
	v_cndmask_b32_e32 v3, v4, v2, vcc_lo
; %bb.28:
	s_or_b32 exec_lo, exec_lo, s0
	global_store_d16_hi_b16 v[0:1], v3, off
.LBB125_29:
	s_nop 0
	s_sendmsg sendmsg(MSG_DEALLOC_VGPRS)
	s_endpgm
	.section	.rodata,"a",@progbits
	.p2align	6, 0x0
	.amdhsa_kernel _ZL22rocblas_saxpy_2_kernelILi256Ef16rocblas_bfloat16PKS0_PS0_EviT1_lT2_llT3_lli
		.amdhsa_group_segment_fixed_size 0
		.amdhsa_private_segment_fixed_size 0
		.amdhsa_kernarg_size 68
		.amdhsa_user_sgpr_count 14
		.amdhsa_user_sgpr_dispatch_ptr 0
		.amdhsa_user_sgpr_queue_ptr 0
		.amdhsa_user_sgpr_kernarg_segment_ptr 1
		.amdhsa_user_sgpr_dispatch_id 0
		.amdhsa_user_sgpr_private_segment_size 0
		.amdhsa_wavefront_size32 1
		.amdhsa_uses_dynamic_stack 0
		.amdhsa_enable_private_segment 0
		.amdhsa_system_sgpr_workgroup_id_x 1
		.amdhsa_system_sgpr_workgroup_id_y 0
		.amdhsa_system_sgpr_workgroup_id_z 1
		.amdhsa_system_sgpr_workgroup_info 0
		.amdhsa_system_vgpr_workitem_id 0
		.amdhsa_next_free_vgpr 12
		.amdhsa_next_free_sgpr 17
		.amdhsa_reserve_vcc 1
		.amdhsa_float_round_mode_32 0
		.amdhsa_float_round_mode_16_64 0
		.amdhsa_float_denorm_mode_32 3
		.amdhsa_float_denorm_mode_16_64 3
		.amdhsa_dx10_clamp 1
		.amdhsa_ieee_mode 1
		.amdhsa_fp16_overflow 0
		.amdhsa_workgroup_processor_mode 1
		.amdhsa_memory_ordered 1
		.amdhsa_forward_progress 0
		.amdhsa_shared_vgpr_count 0
		.amdhsa_exception_fp_ieee_invalid_op 0
		.amdhsa_exception_fp_denorm_src 0
		.amdhsa_exception_fp_ieee_div_zero 0
		.amdhsa_exception_fp_ieee_overflow 0
		.amdhsa_exception_fp_ieee_underflow 0
		.amdhsa_exception_fp_ieee_inexact 0
		.amdhsa_exception_int_div_zero 0
	.end_amdhsa_kernel
	.section	.text._ZL22rocblas_saxpy_2_kernelILi256Ef16rocblas_bfloat16PKS0_PS0_EviT1_lT2_llT3_lli,"axG",@progbits,_ZL22rocblas_saxpy_2_kernelILi256Ef16rocblas_bfloat16PKS0_PS0_EviT1_lT2_llT3_lli,comdat
.Lfunc_end125:
	.size	_ZL22rocblas_saxpy_2_kernelILi256Ef16rocblas_bfloat16PKS0_PS0_EviT1_lT2_llT3_lli, .Lfunc_end125-_ZL22rocblas_saxpy_2_kernelILi256Ef16rocblas_bfloat16PKS0_PS0_EviT1_lT2_llT3_lli
                                        ; -- End function
	.section	.AMDGPU.csdata,"",@progbits
; Kernel info:
; codeLenInByte = 1056
; NumSgprs: 19
; NumVgprs: 12
; ScratchSize: 0
; MemoryBound: 0
; FloatMode: 240
; IeeeMode: 1
; LDSByteSize: 0 bytes/workgroup (compile time only)
; SGPRBlocks: 2
; VGPRBlocks: 1
; NumSGPRsForWavesPerEU: 19
; NumVGPRsForWavesPerEU: 12
; Occupancy: 16
; WaveLimiterHint : 0
; COMPUTE_PGM_RSRC2:SCRATCH_EN: 0
; COMPUTE_PGM_RSRC2:USER_SGPR: 14
; COMPUTE_PGM_RSRC2:TRAP_HANDLER: 0
; COMPUTE_PGM_RSRC2:TGID_X_EN: 1
; COMPUTE_PGM_RSRC2:TGID_Y_EN: 0
; COMPUTE_PGM_RSRC2:TGID_Z_EN: 1
; COMPUTE_PGM_RSRC2:TIDIG_COMP_CNT: 0
	.section	.text._ZL27rocblas_axpy_kernel_batchedIiLi128ELi8EfPK16rocblas_bfloat16S2_PS0_EviT3_lT4_lT_lT5_lS6_li,"axG",@progbits,_ZL27rocblas_axpy_kernel_batchedIiLi128ELi8EfPK16rocblas_bfloat16S2_PS0_EviT3_lT4_lT_lT5_lS6_li,comdat
	.globl	_ZL27rocblas_axpy_kernel_batchedIiLi128ELi8EfPK16rocblas_bfloat16S2_PS0_EviT3_lT4_lT_lT5_lS6_li ; -- Begin function _ZL27rocblas_axpy_kernel_batchedIiLi128ELi8EfPK16rocblas_bfloat16S2_PS0_EviT3_lT4_lT_lT5_lS6_li
	.p2align	8
	.type	_ZL27rocblas_axpy_kernel_batchedIiLi128ELi8EfPK16rocblas_bfloat16S2_PS0_EviT3_lT4_lT_lT5_lS6_li,@function
_ZL27rocblas_axpy_kernel_batchedIiLi128ELi8EfPK16rocblas_bfloat16S2_PS0_EviT3_lT4_lT_lT5_lS6_li: ; @_ZL27rocblas_axpy_kernel_batchedIiLi128ELi8EfPK16rocblas_bfloat16S2_PS0_EviT3_lT4_lT_lT5_lS6_li
; %bb.0:
	s_load_b32 s2, s[0:1], 0x0
	v_dual_mov_b32 v2, 0 :: v_dual_and_b32 v1, 0x3ff, v0
	s_delay_alu instid0(VALU_DEP_1)
	v_lshl_add_u32 v1, s14, 7, v1
	s_waitcnt lgkmcnt(0)
	s_ashr_i32 s3, s2, 31
	s_delay_alu instid0(VALU_DEP_1) | instid1(SALU_CYCLE_1)
	v_cmp_gt_i64_e32 vcc_lo, s[2:3], v[1:2]
	s_and_saveexec_b32 s2, vcc_lo
	s_cbranch_execz .LBB126_45
; %bb.1:
	s_clause 0x6
	s_load_b32 s13, s[0:1], 0x28
	s_load_b32 s14, s[0:1], 0x48
	s_load_b256 s[4:11], s[0:1], 0x8
	s_load_b128 s[16:19], s[0:1], 0x30
	s_load_b64 s[2:3], s[0:1], 0x50
	s_load_b32 s12, s[0:1], 0x58
	s_load_b64 s[0:1], s[0:1], 0x40
	v_bfe_u32 v0, v0, 10, 10
	s_waitcnt lgkmcnt(0)
	v_mad_u64_u32 v[2:3], null, s13, v1, 0
	v_mad_u64_u32 v[4:5], null, s14, v1, 0
	s_ashr_i32 s13, s13, 31
	s_lshl_b64 s[10:11], s[10:11], 1
	s_delay_alu instid0(VALU_DEP_1) | instskip(SKIP_4) | instid1(SALU_CYCLE_1)
	v_mad_u64_u32 v[6:7], null, s13, v1, v[3:4]
	s_ashr_i32 s13, s14, 31
	s_add_u32 s8, s10, s8
	s_addc_u32 s9, s11, s9
	s_lshl_b64 s[0:1], s[0:1], 1
	s_add_u32 s0, s0, s18
	s_delay_alu instid0(VALU_DEP_1) | instskip(SKIP_2) | instid1(VALU_DEP_1)
	v_mad_u64_u32 v[7:8], null, s13, v1, v[5:6]
	v_dual_mov_b32 v3, v6 :: v_dual_lshlrev_b32 v8, 2, v0
	s_addc_u32 s1, s1, s19
	v_lshl_add_u32 v6, s15, 5, v8
	s_delay_alu instid0(VALU_DEP_3) | instskip(NEXT) | instid1(VALU_DEP_3)
	v_mov_b32_e32 v5, v7
	v_lshlrev_b64 v[0:1], 1, v[2:3]
	s_delay_alu instid0(VALU_DEP_2) | instskip(NEXT) | instid1(VALU_DEP_2)
	v_lshlrev_b64 v[2:3], 1, v[4:5]
	v_add_co_u32 v4, vcc_lo, s8, v0
	s_delay_alu instid0(VALU_DEP_3) | instskip(NEXT) | instid1(VALU_DEP_3)
	v_add_co_ci_u32_e32 v5, vcc_lo, s9, v1, vcc_lo
	v_add_co_u32 v2, vcc_lo, s0, v2
	s_delay_alu instid0(VALU_DEP_4)
	v_add_co_ci_u32_e32 v3, vcc_lo, s1, v3, vcc_lo
	s_mov_b32 s0, exec_lo
	v_cmpx_gt_u32_e64 s12, v6
	s_cbranch_execz .LBB126_12
; %bb.2:
	v_mad_u64_u32 v[0:1], null, v6, s6, 0
	s_delay_alu instid0(VALU_DEP_1) | instskip(NEXT) | instid1(VALU_DEP_1)
	v_mad_u64_u32 v[7:8], null, v6, s7, v[1:2]
	v_mov_b32_e32 v1, v7
	s_delay_alu instid0(VALU_DEP_1) | instskip(NEXT) | instid1(VALU_DEP_1)
	v_lshlrev_b64 v[0:1], 1, v[0:1]
	v_add_co_u32 v0, vcc_lo, s4, v0
	s_delay_alu instid0(VALU_DEP_2) | instskip(SKIP_3) | instid1(VALU_DEP_1)
	v_add_co_ci_u32_e32 v1, vcc_lo, s5, v1, vcc_lo
	global_load_u16 v7, v[0:1], off
	s_waitcnt vmcnt(0)
	v_and_b32_e32 v0, 0x7fff, v7
	v_cmp_ne_u16_e32 vcc_lo, 0, v0
	s_and_b32 exec_lo, exec_lo, vcc_lo
	s_cbranch_execz .LBB126_12
; %bb.3:
	v_mad_u64_u32 v[0:1], null, v6, s16, 0
	v_lshlrev_b32_e32 v7, 16, v7
	s_delay_alu instid0(VALU_DEP_2) | instskip(SKIP_1) | instid1(VALU_DEP_1)
	v_mad_u64_u32 v[8:9], null, v6, s17, v[1:2]
	v_mad_u64_u32 v[9:10], null, v6, s2, 0
	v_dual_mov_b32 v1, v8 :: v_dual_mov_b32 v8, v10
	s_delay_alu instid0(VALU_DEP_1) | instskip(NEXT) | instid1(VALU_DEP_2)
	v_lshlrev_b64 v[0:1], 1, v[0:1]
	v_mad_u64_u32 v[10:11], null, v6, s3, v[8:9]
	s_delay_alu instid0(VALU_DEP_2) | instskip(NEXT) | instid1(VALU_DEP_3)
	v_add_co_u32 v0, vcc_lo, v4, v0
	v_add_co_ci_u32_e32 v1, vcc_lo, v5, v1, vcc_lo
	global_load_u16 v11, v[0:1], off
	v_lshlrev_b64 v[0:1], 1, v[9:10]
	s_delay_alu instid0(VALU_DEP_1) | instskip(NEXT) | instid1(VALU_DEP_2)
	v_add_co_u32 v0, vcc_lo, v2, v0
	v_add_co_ci_u32_e32 v1, vcc_lo, v3, v1, vcc_lo
	global_load_u16 v8, v[0:1], off
	s_waitcnt vmcnt(1)
	v_lshlrev_b32_e32 v9, 16, v11
	s_delay_alu instid0(VALU_DEP_1) | instskip(NEXT) | instid1(VALU_DEP_1)
	v_mul_f32_e32 v7, v7, v9
	v_and_b32_e32 v9, 0x7f800000, v7
	s_delay_alu instid0(VALU_DEP_1) | instskip(SKIP_1) | instid1(SALU_CYCLE_1)
	v_cmp_ne_u32_e32 vcc_lo, 0x7f800000, v9
                                        ; implicit-def: $vgpr9
	s_and_saveexec_b32 s1, vcc_lo
	s_xor_b32 s1, exec_lo, s1
; %bb.4:
	v_bfe_u32 v9, v7, 16, 1
	s_delay_alu instid0(VALU_DEP_1)
	v_add3_u32 v9, v7, v9, 0x7fff
                                        ; implicit-def: $vgpr7
; %bb.5:
	s_and_not1_saveexec_b32 s1, s1
; %bb.6:
	v_and_b32_e32 v9, 0xffff, v7
	v_or_b32_e32 v10, 0x10000, v7
	s_delay_alu instid0(VALU_DEP_2) | instskip(NEXT) | instid1(VALU_DEP_2)
	v_cmp_eq_u32_e32 vcc_lo, 0, v9
	v_cndmask_b32_e32 v9, v10, v7, vcc_lo
; %bb.7:
	s_or_b32 exec_lo, exec_lo, s1
	s_delay_alu instid0(VALU_DEP_1) | instskip(SKIP_2) | instid1(VALU_DEP_1)
	v_and_b32_e32 v7, 0xffff0000, v9
	s_waitcnt vmcnt(0)
	v_lshlrev_b32_e32 v8, 16, v8
	v_add_f32_e32 v7, v8, v7
	s_delay_alu instid0(VALU_DEP_1) | instskip(NEXT) | instid1(VALU_DEP_1)
	v_and_b32_e32 v8, 0x7f800000, v7
	v_cmp_ne_u32_e32 vcc_lo, 0x7f800000, v8
                                        ; implicit-def: $vgpr8
	s_and_saveexec_b32 s1, vcc_lo
	s_delay_alu instid0(SALU_CYCLE_1)
	s_xor_b32 s1, exec_lo, s1
; %bb.8:
	v_bfe_u32 v8, v7, 16, 1
	s_delay_alu instid0(VALU_DEP_1)
	v_add3_u32 v8, v7, v8, 0x7fff
                                        ; implicit-def: $vgpr7
; %bb.9:
	s_and_not1_saveexec_b32 s1, s1
; %bb.10:
	v_and_b32_e32 v8, 0xffff, v7
	v_or_b32_e32 v9, 0x10000, v7
	s_delay_alu instid0(VALU_DEP_2) | instskip(NEXT) | instid1(VALU_DEP_2)
	v_cmp_eq_u32_e32 vcc_lo, 0, v8
	v_cndmask_b32_e32 v8, v9, v7, vcc_lo
; %bb.11:
	s_or_b32 exec_lo, exec_lo, s1
	global_store_d16_hi_b16 v[0:1], v8, off
.LBB126_12:
	s_or_b32 exec_lo, exec_lo, s0
	v_or_b32_e32 v0, 1, v6
	s_mov_b32 s0, exec_lo
	s_delay_alu instid0(VALU_DEP_1)
	v_cmpx_gt_u32_e64 s12, v0
	s_cbranch_execz .LBB126_23
; %bb.13:
	v_mad_u64_u32 v[7:8], null, v0, s6, 0
	s_delay_alu instid0(VALU_DEP_1) | instskip(NEXT) | instid1(VALU_DEP_1)
	v_mov_b32_e32 v1, v8
	v_mad_u64_u32 v[8:9], null, v0, s7, v[1:2]
	s_delay_alu instid0(VALU_DEP_1) | instskip(NEXT) | instid1(VALU_DEP_1)
	v_lshlrev_b64 v[7:8], 1, v[7:8]
	v_add_co_u32 v7, vcc_lo, s4, v7
	s_delay_alu instid0(VALU_DEP_2) | instskip(SKIP_3) | instid1(VALU_DEP_1)
	v_add_co_ci_u32_e32 v8, vcc_lo, s5, v8, vcc_lo
	global_load_u16 v7, v[7:8], off
	s_waitcnt vmcnt(0)
	v_and_b32_e32 v1, 0x7fff, v7
	v_cmp_ne_u16_e32 vcc_lo, 0, v1
	s_and_b32 exec_lo, exec_lo, vcc_lo
	s_cbranch_execz .LBB126_23
; %bb.14:
	v_mad_u64_u32 v[8:9], null, v0, s16, 0
	v_lshlrev_b32_e32 v7, 16, v7
	s_delay_alu instid0(VALU_DEP_2) | instskip(NEXT) | instid1(VALU_DEP_1)
	v_mov_b32_e32 v1, v9
	v_mad_u64_u32 v[9:10], null, v0, s17, v[1:2]
	v_mad_u64_u32 v[10:11], null, v0, s2, 0
	s_delay_alu instid0(VALU_DEP_2) | instskip(NEXT) | instid1(VALU_DEP_2)
	v_lshlrev_b64 v[8:9], 1, v[8:9]
	v_mov_b32_e32 v1, v11
	s_delay_alu instid0(VALU_DEP_1) | instskip(NEXT) | instid1(VALU_DEP_3)
	v_mad_u64_u32 v[11:12], null, v0, s3, v[1:2]
	v_add_co_u32 v0, vcc_lo, v4, v8
	s_delay_alu instid0(VALU_DEP_4) | instskip(SKIP_2) | instid1(VALU_DEP_1)
	v_add_co_ci_u32_e32 v1, vcc_lo, v5, v9, vcc_lo
	global_load_u16 v9, v[0:1], off
	v_lshlrev_b64 v[0:1], 1, v[10:11]
	v_add_co_u32 v0, vcc_lo, v2, v0
	s_delay_alu instid0(VALU_DEP_2) | instskip(SKIP_3) | instid1(VALU_DEP_1)
	v_add_co_ci_u32_e32 v1, vcc_lo, v3, v1, vcc_lo
	global_load_u16 v8, v[0:1], off
	s_waitcnt vmcnt(1)
	v_lshlrev_b32_e32 v9, 16, v9
	v_mul_f32_e32 v7, v7, v9
	s_delay_alu instid0(VALU_DEP_1) | instskip(NEXT) | instid1(VALU_DEP_1)
	v_and_b32_e32 v9, 0x7f800000, v7
	v_cmp_ne_u32_e32 vcc_lo, 0x7f800000, v9
                                        ; implicit-def: $vgpr9
	s_and_saveexec_b32 s1, vcc_lo
	s_delay_alu instid0(SALU_CYCLE_1)
	s_xor_b32 s1, exec_lo, s1
; %bb.15:
	v_bfe_u32 v9, v7, 16, 1
	s_delay_alu instid0(VALU_DEP_1)
	v_add3_u32 v9, v7, v9, 0x7fff
                                        ; implicit-def: $vgpr7
; %bb.16:
	s_and_not1_saveexec_b32 s1, s1
; %bb.17:
	v_and_b32_e32 v9, 0xffff, v7
	v_or_b32_e32 v10, 0x10000, v7
	s_delay_alu instid0(VALU_DEP_2) | instskip(NEXT) | instid1(VALU_DEP_2)
	v_cmp_eq_u32_e32 vcc_lo, 0, v9
	v_cndmask_b32_e32 v9, v10, v7, vcc_lo
; %bb.18:
	s_or_b32 exec_lo, exec_lo, s1
	s_delay_alu instid0(VALU_DEP_1) | instskip(SKIP_2) | instid1(VALU_DEP_1)
	v_and_b32_e32 v7, 0xffff0000, v9
	s_waitcnt vmcnt(0)
	v_lshlrev_b32_e32 v8, 16, v8
	v_add_f32_e32 v7, v8, v7
	s_delay_alu instid0(VALU_DEP_1) | instskip(NEXT) | instid1(VALU_DEP_1)
	v_and_b32_e32 v8, 0x7f800000, v7
	v_cmp_ne_u32_e32 vcc_lo, 0x7f800000, v8
                                        ; implicit-def: $vgpr8
	s_and_saveexec_b32 s1, vcc_lo
	s_delay_alu instid0(SALU_CYCLE_1)
	s_xor_b32 s1, exec_lo, s1
; %bb.19:
	v_bfe_u32 v8, v7, 16, 1
	s_delay_alu instid0(VALU_DEP_1)
	v_add3_u32 v8, v7, v8, 0x7fff
                                        ; implicit-def: $vgpr7
; %bb.20:
	s_and_not1_saveexec_b32 s1, s1
; %bb.21:
	v_and_b32_e32 v8, 0xffff, v7
	v_or_b32_e32 v9, 0x10000, v7
	s_delay_alu instid0(VALU_DEP_2) | instskip(NEXT) | instid1(VALU_DEP_2)
	v_cmp_eq_u32_e32 vcc_lo, 0, v8
	v_cndmask_b32_e32 v8, v9, v7, vcc_lo
; %bb.22:
	s_or_b32 exec_lo, exec_lo, s1
	global_store_d16_hi_b16 v[0:1], v8, off
.LBB126_23:
	s_or_b32 exec_lo, exec_lo, s0
	v_or_b32_e32 v0, 2, v6
	s_mov_b32 s0, exec_lo
	s_delay_alu instid0(VALU_DEP_1)
	v_cmpx_gt_u32_e64 s12, v0
	s_cbranch_execz .LBB126_34
; %bb.24:
	v_mad_u64_u32 v[7:8], null, v0, s6, 0
	s_delay_alu instid0(VALU_DEP_1) | instskip(NEXT) | instid1(VALU_DEP_1)
	v_mov_b32_e32 v1, v8
	v_mad_u64_u32 v[8:9], null, v0, s7, v[1:2]
	s_delay_alu instid0(VALU_DEP_1) | instskip(NEXT) | instid1(VALU_DEP_1)
	v_lshlrev_b64 v[7:8], 1, v[7:8]
	v_add_co_u32 v7, vcc_lo, s4, v7
	s_delay_alu instid0(VALU_DEP_2) | instskip(SKIP_3) | instid1(VALU_DEP_1)
	v_add_co_ci_u32_e32 v8, vcc_lo, s5, v8, vcc_lo
	global_load_u16 v7, v[7:8], off
	s_waitcnt vmcnt(0)
	v_and_b32_e32 v1, 0x7fff, v7
	v_cmp_ne_u16_e32 vcc_lo, 0, v1
	s_and_b32 exec_lo, exec_lo, vcc_lo
	s_cbranch_execz .LBB126_34
; %bb.25:
	v_mad_u64_u32 v[8:9], null, v0, s16, 0
	v_lshlrev_b32_e32 v7, 16, v7
	s_delay_alu instid0(VALU_DEP_2) | instskip(NEXT) | instid1(VALU_DEP_1)
	v_mov_b32_e32 v1, v9
	v_mad_u64_u32 v[9:10], null, v0, s17, v[1:2]
	v_mad_u64_u32 v[10:11], null, v0, s2, 0
	s_delay_alu instid0(VALU_DEP_2) | instskip(NEXT) | instid1(VALU_DEP_2)
	v_lshlrev_b64 v[8:9], 1, v[8:9]
	v_mov_b32_e32 v1, v11
	s_delay_alu instid0(VALU_DEP_1) | instskip(NEXT) | instid1(VALU_DEP_3)
	v_mad_u64_u32 v[11:12], null, v0, s3, v[1:2]
	v_add_co_u32 v0, vcc_lo, v4, v8
	s_delay_alu instid0(VALU_DEP_4) | instskip(SKIP_2) | instid1(VALU_DEP_1)
	v_add_co_ci_u32_e32 v1, vcc_lo, v5, v9, vcc_lo
	global_load_u16 v9, v[0:1], off
	v_lshlrev_b64 v[0:1], 1, v[10:11]
	v_add_co_u32 v0, vcc_lo, v2, v0
	s_delay_alu instid0(VALU_DEP_2) | instskip(SKIP_3) | instid1(VALU_DEP_1)
	v_add_co_ci_u32_e32 v1, vcc_lo, v3, v1, vcc_lo
	global_load_u16 v8, v[0:1], off
	s_waitcnt vmcnt(1)
	v_lshlrev_b32_e32 v9, 16, v9
	v_mul_f32_e32 v7, v7, v9
	s_delay_alu instid0(VALU_DEP_1) | instskip(NEXT) | instid1(VALU_DEP_1)
	v_and_b32_e32 v9, 0x7f800000, v7
	v_cmp_ne_u32_e32 vcc_lo, 0x7f800000, v9
                                        ; implicit-def: $vgpr9
	s_and_saveexec_b32 s1, vcc_lo
	s_delay_alu instid0(SALU_CYCLE_1)
	s_xor_b32 s1, exec_lo, s1
; %bb.26:
	v_bfe_u32 v9, v7, 16, 1
	s_delay_alu instid0(VALU_DEP_1)
	v_add3_u32 v9, v7, v9, 0x7fff
                                        ; implicit-def: $vgpr7
; %bb.27:
	s_and_not1_saveexec_b32 s1, s1
; %bb.28:
	v_and_b32_e32 v9, 0xffff, v7
	v_or_b32_e32 v10, 0x10000, v7
	s_delay_alu instid0(VALU_DEP_2) | instskip(NEXT) | instid1(VALU_DEP_2)
	v_cmp_eq_u32_e32 vcc_lo, 0, v9
	v_cndmask_b32_e32 v9, v10, v7, vcc_lo
; %bb.29:
	s_or_b32 exec_lo, exec_lo, s1
	s_delay_alu instid0(VALU_DEP_1) | instskip(SKIP_2) | instid1(VALU_DEP_1)
	v_and_b32_e32 v7, 0xffff0000, v9
	s_waitcnt vmcnt(0)
	v_lshlrev_b32_e32 v8, 16, v8
	v_add_f32_e32 v7, v8, v7
	s_delay_alu instid0(VALU_DEP_1) | instskip(NEXT) | instid1(VALU_DEP_1)
	v_and_b32_e32 v8, 0x7f800000, v7
	v_cmp_ne_u32_e32 vcc_lo, 0x7f800000, v8
                                        ; implicit-def: $vgpr8
	s_and_saveexec_b32 s1, vcc_lo
	s_delay_alu instid0(SALU_CYCLE_1)
	s_xor_b32 s1, exec_lo, s1
; %bb.30:
	v_bfe_u32 v8, v7, 16, 1
	s_delay_alu instid0(VALU_DEP_1)
	v_add3_u32 v8, v7, v8, 0x7fff
                                        ; implicit-def: $vgpr7
; %bb.31:
	s_and_not1_saveexec_b32 s1, s1
; %bb.32:
	v_and_b32_e32 v8, 0xffff, v7
	v_or_b32_e32 v9, 0x10000, v7
	s_delay_alu instid0(VALU_DEP_2) | instskip(NEXT) | instid1(VALU_DEP_2)
	v_cmp_eq_u32_e32 vcc_lo, 0, v8
	v_cndmask_b32_e32 v8, v9, v7, vcc_lo
; %bb.33:
	s_or_b32 exec_lo, exec_lo, s1
	global_store_d16_hi_b16 v[0:1], v8, off
.LBB126_34:
	s_or_b32 exec_lo, exec_lo, s0
	v_or_b32_e32 v0, 3, v6
	s_delay_alu instid0(VALU_DEP_1)
	v_cmp_gt_u32_e32 vcc_lo, s12, v0
	s_and_b32 exec_lo, exec_lo, vcc_lo
	s_cbranch_execz .LBB126_45
; %bb.35:
	v_mad_u64_u32 v[6:7], null, v0, s6, 0
	s_delay_alu instid0(VALU_DEP_1) | instskip(NEXT) | instid1(VALU_DEP_1)
	v_mov_b32_e32 v1, v7
	v_mad_u64_u32 v[7:8], null, v0, s7, v[1:2]
	s_delay_alu instid0(VALU_DEP_1) | instskip(NEXT) | instid1(VALU_DEP_1)
	v_lshlrev_b64 v[6:7], 1, v[6:7]
	v_add_co_u32 v6, vcc_lo, s4, v6
	s_delay_alu instid0(VALU_DEP_2) | instskip(SKIP_3) | instid1(VALU_DEP_1)
	v_add_co_ci_u32_e32 v7, vcc_lo, s5, v7, vcc_lo
	global_load_u16 v6, v[6:7], off
	s_waitcnt vmcnt(0)
	v_and_b32_e32 v1, 0x7fff, v6
	v_cmp_ne_u16_e32 vcc_lo, 0, v1
	s_and_b32 exec_lo, exec_lo, vcc_lo
	s_cbranch_execz .LBB126_45
; %bb.36:
	v_mad_u64_u32 v[7:8], null, v0, s16, 0
	s_delay_alu instid0(VALU_DEP_1) | instskip(NEXT) | instid1(VALU_DEP_1)
	v_mov_b32_e32 v1, v8
	v_mad_u64_u32 v[8:9], null, v0, s17, v[1:2]
	v_mad_u64_u32 v[9:10], null, v0, s2, 0
	s_delay_alu instid0(VALU_DEP_2) | instskip(NEXT) | instid1(VALU_DEP_2)
	v_lshlrev_b64 v[7:8], 1, v[7:8]
	v_mov_b32_e32 v1, v10
	s_delay_alu instid0(VALU_DEP_1) | instskip(NEXT) | instid1(VALU_DEP_3)
	v_mad_u64_u32 v[10:11], null, v0, s3, v[1:2]
	v_add_co_u32 v0, vcc_lo, v4, v7
	s_delay_alu instid0(VALU_DEP_4) | instskip(SKIP_2) | instid1(VALU_DEP_1)
	v_add_co_ci_u32_e32 v1, vcc_lo, v5, v8, vcc_lo
	global_load_u16 v4, v[0:1], off
	v_lshlrev_b64 v[0:1], 1, v[9:10]
	v_add_co_u32 v0, vcc_lo, v2, v0
	s_delay_alu instid0(VALU_DEP_2) | instskip(SKIP_4) | instid1(VALU_DEP_1)
	v_add_co_ci_u32_e32 v1, vcc_lo, v3, v1, vcc_lo
	v_lshlrev_b32_e32 v3, 16, v6
	global_load_u16 v2, v[0:1], off
	s_waitcnt vmcnt(1)
	v_lshlrev_b32_e32 v4, 16, v4
	v_mul_f32_e32 v3, v3, v4
	s_delay_alu instid0(VALU_DEP_1) | instskip(NEXT) | instid1(VALU_DEP_1)
	v_and_b32_e32 v4, 0x7f800000, v3
	v_cmp_ne_u32_e32 vcc_lo, 0x7f800000, v4
                                        ; implicit-def: $vgpr4
	s_and_saveexec_b32 s0, vcc_lo
	s_delay_alu instid0(SALU_CYCLE_1)
	s_xor_b32 s0, exec_lo, s0
; %bb.37:
	v_bfe_u32 v4, v3, 16, 1
	s_delay_alu instid0(VALU_DEP_1)
	v_add3_u32 v4, v3, v4, 0x7fff
                                        ; implicit-def: $vgpr3
; %bb.38:
	s_and_not1_saveexec_b32 s0, s0
; %bb.39:
	v_and_b32_e32 v4, 0xffff, v3
	v_or_b32_e32 v5, 0x10000, v3
	s_delay_alu instid0(VALU_DEP_2) | instskip(NEXT) | instid1(VALU_DEP_2)
	v_cmp_eq_u32_e32 vcc_lo, 0, v4
	v_cndmask_b32_e32 v4, v5, v3, vcc_lo
; %bb.40:
	s_or_b32 exec_lo, exec_lo, s0
	s_delay_alu instid0(VALU_DEP_1) | instskip(SKIP_2) | instid1(VALU_DEP_1)
	v_and_b32_e32 v3, 0xffff0000, v4
	s_waitcnt vmcnt(0)
	v_lshlrev_b32_e32 v2, 16, v2
	v_add_f32_e32 v2, v2, v3
	s_delay_alu instid0(VALU_DEP_1) | instskip(NEXT) | instid1(VALU_DEP_1)
	v_and_b32_e32 v3, 0x7f800000, v2
	v_cmp_ne_u32_e32 vcc_lo, 0x7f800000, v3
                                        ; implicit-def: $vgpr3
	s_and_saveexec_b32 s0, vcc_lo
	s_delay_alu instid0(SALU_CYCLE_1)
	s_xor_b32 s0, exec_lo, s0
; %bb.41:
	v_bfe_u32 v3, v2, 16, 1
	s_delay_alu instid0(VALU_DEP_1)
	v_add3_u32 v3, v2, v3, 0x7fff
                                        ; implicit-def: $vgpr2
; %bb.42:
	s_and_not1_saveexec_b32 s0, s0
; %bb.43:
	v_and_b32_e32 v3, 0xffff, v2
	v_or_b32_e32 v4, 0x10000, v2
	s_delay_alu instid0(VALU_DEP_2) | instskip(NEXT) | instid1(VALU_DEP_2)
	v_cmp_eq_u32_e32 vcc_lo, 0, v3
	v_cndmask_b32_e32 v3, v4, v2, vcc_lo
; %bb.44:
	s_or_b32 exec_lo, exec_lo, s0
	global_store_d16_hi_b16 v[0:1], v3, off
.LBB126_45:
	s_nop 0
	s_sendmsg sendmsg(MSG_DEALLOC_VGPRS)
	s_endpgm
	.section	.rodata,"a",@progbits
	.p2align	6, 0x0
	.amdhsa_kernel _ZL27rocblas_axpy_kernel_batchedIiLi128ELi8EfPK16rocblas_bfloat16S2_PS0_EviT3_lT4_lT_lT5_lS6_li
		.amdhsa_group_segment_fixed_size 0
		.amdhsa_private_segment_fixed_size 0
		.amdhsa_kernarg_size 92
		.amdhsa_user_sgpr_count 14
		.amdhsa_user_sgpr_dispatch_ptr 0
		.amdhsa_user_sgpr_queue_ptr 0
		.amdhsa_user_sgpr_kernarg_segment_ptr 1
		.amdhsa_user_sgpr_dispatch_id 0
		.amdhsa_user_sgpr_private_segment_size 0
		.amdhsa_wavefront_size32 1
		.amdhsa_uses_dynamic_stack 0
		.amdhsa_enable_private_segment 0
		.amdhsa_system_sgpr_workgroup_id_x 1
		.amdhsa_system_sgpr_workgroup_id_y 0
		.amdhsa_system_sgpr_workgroup_id_z 1
		.amdhsa_system_sgpr_workgroup_info 0
		.amdhsa_system_vgpr_workitem_id 1
		.amdhsa_next_free_vgpr 13
		.amdhsa_next_free_sgpr 20
		.amdhsa_reserve_vcc 1
		.amdhsa_float_round_mode_32 0
		.amdhsa_float_round_mode_16_64 0
		.amdhsa_float_denorm_mode_32 3
		.amdhsa_float_denorm_mode_16_64 3
		.amdhsa_dx10_clamp 1
		.amdhsa_ieee_mode 1
		.amdhsa_fp16_overflow 0
		.amdhsa_workgroup_processor_mode 1
		.amdhsa_memory_ordered 1
		.amdhsa_forward_progress 0
		.amdhsa_shared_vgpr_count 0
		.amdhsa_exception_fp_ieee_invalid_op 0
		.amdhsa_exception_fp_denorm_src 0
		.amdhsa_exception_fp_ieee_div_zero 0
		.amdhsa_exception_fp_ieee_overflow 0
		.amdhsa_exception_fp_ieee_underflow 0
		.amdhsa_exception_fp_ieee_inexact 0
		.amdhsa_exception_int_div_zero 0
	.end_amdhsa_kernel
	.section	.text._ZL27rocblas_axpy_kernel_batchedIiLi128ELi8EfPK16rocblas_bfloat16S2_PS0_EviT3_lT4_lT_lT5_lS6_li,"axG",@progbits,_ZL27rocblas_axpy_kernel_batchedIiLi128ELi8EfPK16rocblas_bfloat16S2_PS0_EviT3_lT4_lT_lT5_lS6_li,comdat
.Lfunc_end126:
	.size	_ZL27rocblas_axpy_kernel_batchedIiLi128ELi8EfPK16rocblas_bfloat16S2_PS0_EviT3_lT4_lT_lT5_lS6_li, .Lfunc_end126-_ZL27rocblas_axpy_kernel_batchedIiLi128ELi8EfPK16rocblas_bfloat16S2_PS0_EviT3_lT4_lT_lT5_lS6_li
                                        ; -- End function
	.section	.AMDGPU.csdata,"",@progbits
; Kernel info:
; codeLenInByte = 2108
; NumSgprs: 22
; NumVgprs: 13
; ScratchSize: 0
; MemoryBound: 0
; FloatMode: 240
; IeeeMode: 1
; LDSByteSize: 0 bytes/workgroup (compile time only)
; SGPRBlocks: 2
; VGPRBlocks: 1
; NumSGPRsForWavesPerEU: 22
; NumVGPRsForWavesPerEU: 13
; Occupancy: 16
; WaveLimiterHint : 0
; COMPUTE_PGM_RSRC2:SCRATCH_EN: 0
; COMPUTE_PGM_RSRC2:USER_SGPR: 14
; COMPUTE_PGM_RSRC2:TRAP_HANDLER: 0
; COMPUTE_PGM_RSRC2:TGID_X_EN: 1
; COMPUTE_PGM_RSRC2:TGID_Y_EN: 0
; COMPUTE_PGM_RSRC2:TGID_Z_EN: 1
; COMPUTE_PGM_RSRC2:TIDIG_COMP_CNT: 1
	.section	.text._ZL27rocblas_axpy_kernel_batchedIiLi128ELi8Ef16rocblas_bfloat16PKS0_PS0_EviT3_lT4_lT_lT5_lS6_li,"axG",@progbits,_ZL27rocblas_axpy_kernel_batchedIiLi128ELi8Ef16rocblas_bfloat16PKS0_PS0_EviT3_lT4_lT_lT5_lS6_li,comdat
	.globl	_ZL27rocblas_axpy_kernel_batchedIiLi128ELi8Ef16rocblas_bfloat16PKS0_PS0_EviT3_lT4_lT_lT5_lS6_li ; -- Begin function _ZL27rocblas_axpy_kernel_batchedIiLi128ELi8Ef16rocblas_bfloat16PKS0_PS0_EviT3_lT4_lT_lT5_lS6_li
	.p2align	8
	.type	_ZL27rocblas_axpy_kernel_batchedIiLi128ELi8Ef16rocblas_bfloat16PKS0_PS0_EviT3_lT4_lT_lT5_lS6_li,@function
_ZL27rocblas_axpy_kernel_batchedIiLi128ELi8Ef16rocblas_bfloat16PKS0_PS0_EviT3_lT4_lT_lT5_lS6_li: ; @_ZL27rocblas_axpy_kernel_batchedIiLi128ELi8Ef16rocblas_bfloat16PKS0_PS0_EviT3_lT4_lT_lT5_lS6_li
; %bb.0:
	s_load_b64 s[8:9], s[0:1], 0x0
	v_dual_mov_b32 v2, 0 :: v_dual_and_b32 v1, 0x3ff, v0
	s_delay_alu instid0(VALU_DEP_1)
	v_lshl_add_u32 v1, s14, 7, v1
	s_waitcnt lgkmcnt(0)
	s_ashr_i32 s3, s8, 31
	s_mov_b32 s2, s8
	s_delay_alu instid0(VALU_DEP_1) | instid1(SALU_CYCLE_1)
	v_cmp_gt_i64_e32 vcc_lo, s[2:3], v[1:2]
	s_and_saveexec_b32 s2, vcc_lo
	s_cbranch_execz .LBB127_41
; %bb.1:
	s_clause 0x2
	s_load_b32 s12, s[0:1], 0x20
	s_load_b32 s13, s[0:1], 0x40
	s_load_b128 s[16:19], s[0:1], 0x10
	v_bfe_u32 v7, v0, 10, 10
	s_clause 0x3
	s_load_b64 s[2:3], s[0:1], 0x48
	s_load_b32 s8, s[0:1], 0x50
	s_load_b64 s[10:11], s[0:1], 0x38
	s_load_b128 s[4:7], s[0:1], 0x28
	v_and_b32_e64 v9, 0x7fff, s9
	s_delay_alu instid0(VALU_DEP_1) | instskip(SKIP_4) | instid1(VALU_DEP_1)
	v_cmp_ne_u16_e32 vcc_lo, 0, v9
	s_waitcnt lgkmcnt(0)
	v_mad_u64_u32 v[2:3], null, s12, v1, 0
	v_mad_u64_u32 v[4:5], null, s13, v1, 0
	s_ashr_i32 s0, s12, 31
	v_dual_mov_b32 v0, v3 :: v_dual_mov_b32 v3, v5
	s_delay_alu instid0(VALU_DEP_1) | instskip(SKIP_2) | instid1(VALU_DEP_3)
	v_mad_u64_u32 v[5:6], null, s0, v1, v[0:1]
	s_ashr_i32 s0, s13, 31
	v_lshlrev_b32_e32 v0, 2, v7
	v_mad_u64_u32 v[7:8], null, s0, v1, v[3:4]
	s_lshl_b64 s[0:1], s[18:19], 1
	s_delay_alu instid0(VALU_DEP_3) | instskip(NEXT) | instid1(VALU_DEP_3)
	v_mov_b32_e32 v3, v5
	v_lshl_add_u32 v6, s15, 5, v0
	s_add_u32 s12, s0, s16
	s_addc_u32 s13, s1, s17
	s_delay_alu instid0(VALU_DEP_3)
	v_mov_b32_e32 v5, v7
	v_lshlrev_b64 v[0:1], 1, v[2:3]
	s_lshl_b64 s[10:11], s[10:11], 1
	v_cmp_gt_u32_e64 s0, s8, v6
	s_add_u32 s6, s10, s6
	v_lshlrev_b64 v[2:3], 1, v[4:5]
	s_addc_u32 s7, s11, s7
	v_add_co_u32 v4, s1, s12, v0
	s_delay_alu instid0(VALU_DEP_1) | instskip(NEXT) | instid1(VALU_DEP_3)
	v_add_co_ci_u32_e64 v5, s1, s13, v1, s1
	v_add_co_u32 v2, s1, s6, v2
	s_delay_alu instid0(VALU_DEP_1) | instskip(SKIP_2) | instid1(SALU_CYCLE_1)
	v_add_co_ci_u32_e64 v3, s1, s7, v3, s1
	s_lshl_b32 s1, s9, 16
	s_and_b32 s0, s0, vcc_lo
	s_and_saveexec_b32 s6, s0
	s_cbranch_execz .LBB127_11
; %bb.2:
	v_mad_u64_u32 v[0:1], null, v6, s4, 0
	s_delay_alu instid0(VALU_DEP_1) | instskip(SKIP_1) | instid1(VALU_DEP_2)
	v_mad_u64_u32 v[7:8], null, v6, s5, v[1:2]
	v_mad_u64_u32 v[8:9], null, v6, s2, 0
	v_mov_b32_e32 v1, v7
	s_delay_alu instid0(VALU_DEP_2) | instskip(NEXT) | instid1(VALU_DEP_2)
	v_mov_b32_e32 v7, v9
	v_lshlrev_b64 v[0:1], 1, v[0:1]
	s_delay_alu instid0(VALU_DEP_2) | instskip(NEXT) | instid1(VALU_DEP_2)
	v_mad_u64_u32 v[9:10], null, v6, s3, v[7:8]
	v_add_co_u32 v0, s0, v4, v0
	s_delay_alu instid0(VALU_DEP_1) | instskip(SKIP_2) | instid1(VALU_DEP_1)
	v_add_co_ci_u32_e64 v1, s0, v5, v1, s0
	global_load_u16 v10, v[0:1], off
	v_lshlrev_b64 v[0:1], 1, v[8:9]
	v_add_co_u32 v0, s0, v2, v0
	s_delay_alu instid0(VALU_DEP_1) | instskip(SKIP_3) | instid1(VALU_DEP_1)
	v_add_co_ci_u32_e64 v1, s0, v3, v1, s0
	global_load_u16 v7, v[0:1], off
	s_waitcnt vmcnt(1)
	v_lshlrev_b32_e32 v8, 16, v10
	v_mul_f32_e32 v8, s1, v8
	s_delay_alu instid0(VALU_DEP_1) | instskip(NEXT) | instid1(VALU_DEP_1)
	v_and_b32_e32 v9, 0x7f800000, v8
	v_cmp_ne_u32_e64 s0, 0x7f800000, v9
                                        ; implicit-def: $vgpr9
	s_delay_alu instid0(VALU_DEP_1) | instskip(NEXT) | instid1(SALU_CYCLE_1)
	s_and_saveexec_b32 s7, s0
	s_xor_b32 s0, exec_lo, s7
; %bb.3:
	v_bfe_u32 v9, v8, 16, 1
	s_delay_alu instid0(VALU_DEP_1)
	v_add3_u32 v9, v8, v9, 0x7fff
                                        ; implicit-def: $vgpr8
; %bb.4:
	s_and_not1_saveexec_b32 s7, s0
; %bb.5:
	v_and_b32_e32 v9, 0xffff, v8
	v_or_b32_e32 v10, 0x10000, v8
	s_delay_alu instid0(VALU_DEP_2) | instskip(NEXT) | instid1(VALU_DEP_1)
	v_cmp_eq_u32_e64 s0, 0, v9
	v_cndmask_b32_e64 v9, v10, v8, s0
; %bb.6:
	s_or_b32 exec_lo, exec_lo, s7
	s_delay_alu instid0(VALU_DEP_1) | instskip(SKIP_2) | instid1(VALU_DEP_1)
	v_and_b32_e32 v8, 0xffff0000, v9
	s_waitcnt vmcnt(0)
	v_lshlrev_b32_e32 v7, 16, v7
	v_add_f32_e32 v7, v7, v8
	s_delay_alu instid0(VALU_DEP_1) | instskip(NEXT) | instid1(VALU_DEP_1)
	v_and_b32_e32 v8, 0x7f800000, v7
	v_cmp_ne_u32_e64 s0, 0x7f800000, v8
                                        ; implicit-def: $vgpr8
	s_delay_alu instid0(VALU_DEP_1) | instskip(NEXT) | instid1(SALU_CYCLE_1)
	s_and_saveexec_b32 s7, s0
	s_xor_b32 s0, exec_lo, s7
; %bb.7:
	v_bfe_u32 v8, v7, 16, 1
	s_delay_alu instid0(VALU_DEP_1)
	v_add3_u32 v8, v7, v8, 0x7fff
                                        ; implicit-def: $vgpr7
; %bb.8:
	s_and_not1_saveexec_b32 s7, s0
; %bb.9:
	v_and_b32_e32 v8, 0xffff, v7
	v_or_b32_e32 v9, 0x10000, v7
	s_delay_alu instid0(VALU_DEP_2) | instskip(NEXT) | instid1(VALU_DEP_1)
	v_cmp_eq_u32_e64 s0, 0, v8
	v_cndmask_b32_e64 v8, v9, v7, s0
; %bb.10:
	s_or_b32 exec_lo, exec_lo, s7
	global_store_d16_hi_b16 v[0:1], v8, off
.LBB127_11:
	s_or_b32 exec_lo, exec_lo, s6
	v_or_b32_e32 v0, 1, v6
	s_delay_alu instid0(VALU_DEP_1) | instskip(NEXT) | instid1(VALU_DEP_1)
	v_cmp_gt_u32_e64 s0, s8, v0
	s_and_b32 s0, s0, vcc_lo
	s_delay_alu instid0(SALU_CYCLE_1)
	s_and_saveexec_b32 s6, s0
	s_cbranch_execz .LBB127_21
; %bb.12:
	v_mad_u64_u32 v[7:8], null, v0, s4, 0
	s_delay_alu instid0(VALU_DEP_1) | instskip(NEXT) | instid1(VALU_DEP_1)
	v_mov_b32_e32 v1, v8
	v_mad_u64_u32 v[8:9], null, v0, s5, v[1:2]
	v_mad_u64_u32 v[9:10], null, v0, s2, 0
	s_delay_alu instid0(VALU_DEP_2) | instskip(NEXT) | instid1(VALU_DEP_2)
	v_lshlrev_b64 v[7:8], 1, v[7:8]
	v_mov_b32_e32 v1, v10
	s_delay_alu instid0(VALU_DEP_1) | instskip(NEXT) | instid1(VALU_DEP_3)
	v_mad_u64_u32 v[10:11], null, v0, s3, v[1:2]
	v_add_co_u32 v0, s0, v4, v7
	s_delay_alu instid0(VALU_DEP_1) | instskip(SKIP_2) | instid1(VALU_DEP_1)
	v_add_co_ci_u32_e64 v1, s0, v5, v8, s0
	global_load_u16 v8, v[0:1], off
	v_lshlrev_b64 v[0:1], 1, v[9:10]
	v_add_co_u32 v0, s0, v2, v0
	s_delay_alu instid0(VALU_DEP_1) | instskip(SKIP_3) | instid1(VALU_DEP_1)
	v_add_co_ci_u32_e64 v1, s0, v3, v1, s0
	global_load_u16 v7, v[0:1], off
	s_waitcnt vmcnt(1)
	v_lshlrev_b32_e32 v8, 16, v8
	v_mul_f32_e32 v8, s1, v8
	s_delay_alu instid0(VALU_DEP_1) | instskip(NEXT) | instid1(VALU_DEP_1)
	v_and_b32_e32 v9, 0x7f800000, v8
	v_cmp_ne_u32_e64 s0, 0x7f800000, v9
                                        ; implicit-def: $vgpr9
	s_delay_alu instid0(VALU_DEP_1) | instskip(NEXT) | instid1(SALU_CYCLE_1)
	s_and_saveexec_b32 s7, s0
	s_xor_b32 s0, exec_lo, s7
; %bb.13:
	v_bfe_u32 v9, v8, 16, 1
	s_delay_alu instid0(VALU_DEP_1)
	v_add3_u32 v9, v8, v9, 0x7fff
                                        ; implicit-def: $vgpr8
; %bb.14:
	s_and_not1_saveexec_b32 s7, s0
; %bb.15:
	v_and_b32_e32 v9, 0xffff, v8
	v_or_b32_e32 v10, 0x10000, v8
	s_delay_alu instid0(VALU_DEP_2) | instskip(NEXT) | instid1(VALU_DEP_1)
	v_cmp_eq_u32_e64 s0, 0, v9
	v_cndmask_b32_e64 v9, v10, v8, s0
; %bb.16:
	s_or_b32 exec_lo, exec_lo, s7
	s_delay_alu instid0(VALU_DEP_1) | instskip(SKIP_2) | instid1(VALU_DEP_1)
	v_and_b32_e32 v8, 0xffff0000, v9
	s_waitcnt vmcnt(0)
	v_lshlrev_b32_e32 v7, 16, v7
	v_add_f32_e32 v7, v7, v8
	s_delay_alu instid0(VALU_DEP_1) | instskip(NEXT) | instid1(VALU_DEP_1)
	v_and_b32_e32 v8, 0x7f800000, v7
	v_cmp_ne_u32_e64 s0, 0x7f800000, v8
                                        ; implicit-def: $vgpr8
	s_delay_alu instid0(VALU_DEP_1) | instskip(NEXT) | instid1(SALU_CYCLE_1)
	s_and_saveexec_b32 s7, s0
	s_xor_b32 s0, exec_lo, s7
; %bb.17:
	v_bfe_u32 v8, v7, 16, 1
	s_delay_alu instid0(VALU_DEP_1)
	v_add3_u32 v8, v7, v8, 0x7fff
                                        ; implicit-def: $vgpr7
; %bb.18:
	s_and_not1_saveexec_b32 s7, s0
; %bb.19:
	v_and_b32_e32 v8, 0xffff, v7
	v_or_b32_e32 v9, 0x10000, v7
	s_delay_alu instid0(VALU_DEP_2) | instskip(NEXT) | instid1(VALU_DEP_1)
	v_cmp_eq_u32_e64 s0, 0, v8
	v_cndmask_b32_e64 v8, v9, v7, s0
; %bb.20:
	s_or_b32 exec_lo, exec_lo, s7
	global_store_d16_hi_b16 v[0:1], v8, off
.LBB127_21:
	s_or_b32 exec_lo, exec_lo, s6
	v_or_b32_e32 v0, 2, v6
	s_delay_alu instid0(VALU_DEP_1) | instskip(NEXT) | instid1(VALU_DEP_1)
	v_cmp_gt_u32_e64 s0, s8, v0
	s_and_b32 s0, s0, vcc_lo
	s_delay_alu instid0(SALU_CYCLE_1)
	s_and_saveexec_b32 s6, s0
	s_cbranch_execz .LBB127_31
; %bb.22:
	v_mad_u64_u32 v[7:8], null, v0, s4, 0
	s_delay_alu instid0(VALU_DEP_1) | instskip(NEXT) | instid1(VALU_DEP_1)
	v_mov_b32_e32 v1, v8
	v_mad_u64_u32 v[8:9], null, v0, s5, v[1:2]
	v_mad_u64_u32 v[9:10], null, v0, s2, 0
	s_delay_alu instid0(VALU_DEP_2) | instskip(NEXT) | instid1(VALU_DEP_2)
	v_lshlrev_b64 v[7:8], 1, v[7:8]
	v_mov_b32_e32 v1, v10
	s_delay_alu instid0(VALU_DEP_1) | instskip(NEXT) | instid1(VALU_DEP_3)
	v_mad_u64_u32 v[10:11], null, v0, s3, v[1:2]
	v_add_co_u32 v0, s0, v4, v7
	s_delay_alu instid0(VALU_DEP_1) | instskip(SKIP_2) | instid1(VALU_DEP_1)
	v_add_co_ci_u32_e64 v1, s0, v5, v8, s0
	global_load_u16 v8, v[0:1], off
	v_lshlrev_b64 v[0:1], 1, v[9:10]
	v_add_co_u32 v0, s0, v2, v0
	s_delay_alu instid0(VALU_DEP_1) | instskip(SKIP_3) | instid1(VALU_DEP_1)
	v_add_co_ci_u32_e64 v1, s0, v3, v1, s0
	global_load_u16 v7, v[0:1], off
	s_waitcnt vmcnt(1)
	v_lshlrev_b32_e32 v8, 16, v8
	v_mul_f32_e32 v8, s1, v8
	s_delay_alu instid0(VALU_DEP_1) | instskip(NEXT) | instid1(VALU_DEP_1)
	v_and_b32_e32 v9, 0x7f800000, v8
	v_cmp_ne_u32_e64 s0, 0x7f800000, v9
                                        ; implicit-def: $vgpr9
	s_delay_alu instid0(VALU_DEP_1) | instskip(NEXT) | instid1(SALU_CYCLE_1)
	s_and_saveexec_b32 s7, s0
	s_xor_b32 s0, exec_lo, s7
; %bb.23:
	v_bfe_u32 v9, v8, 16, 1
	s_delay_alu instid0(VALU_DEP_1)
	v_add3_u32 v9, v8, v9, 0x7fff
                                        ; implicit-def: $vgpr8
; %bb.24:
	s_and_not1_saveexec_b32 s7, s0
; %bb.25:
	v_and_b32_e32 v9, 0xffff, v8
	v_or_b32_e32 v10, 0x10000, v8
	s_delay_alu instid0(VALU_DEP_2) | instskip(NEXT) | instid1(VALU_DEP_1)
	v_cmp_eq_u32_e64 s0, 0, v9
	v_cndmask_b32_e64 v9, v10, v8, s0
; %bb.26:
	s_or_b32 exec_lo, exec_lo, s7
	s_delay_alu instid0(VALU_DEP_1) | instskip(SKIP_2) | instid1(VALU_DEP_1)
	v_and_b32_e32 v8, 0xffff0000, v9
	s_waitcnt vmcnt(0)
	v_lshlrev_b32_e32 v7, 16, v7
	v_add_f32_e32 v7, v7, v8
	s_delay_alu instid0(VALU_DEP_1) | instskip(NEXT) | instid1(VALU_DEP_1)
	v_and_b32_e32 v8, 0x7f800000, v7
	v_cmp_ne_u32_e64 s0, 0x7f800000, v8
                                        ; implicit-def: $vgpr8
	s_delay_alu instid0(VALU_DEP_1) | instskip(NEXT) | instid1(SALU_CYCLE_1)
	s_and_saveexec_b32 s7, s0
	s_xor_b32 s0, exec_lo, s7
; %bb.27:
	v_bfe_u32 v8, v7, 16, 1
	s_delay_alu instid0(VALU_DEP_1)
	v_add3_u32 v8, v7, v8, 0x7fff
                                        ; implicit-def: $vgpr7
; %bb.28:
	s_and_not1_saveexec_b32 s7, s0
; %bb.29:
	v_and_b32_e32 v8, 0xffff, v7
	v_or_b32_e32 v9, 0x10000, v7
	s_delay_alu instid0(VALU_DEP_2) | instskip(NEXT) | instid1(VALU_DEP_1)
	v_cmp_eq_u32_e64 s0, 0, v8
	v_cndmask_b32_e64 v8, v9, v7, s0
; %bb.30:
	s_or_b32 exec_lo, exec_lo, s7
	global_store_d16_hi_b16 v[0:1], v8, off
.LBB127_31:
	s_or_b32 exec_lo, exec_lo, s6
	v_or_b32_e32 v0, 3, v6
	s_delay_alu instid0(VALU_DEP_1) | instskip(NEXT) | instid1(VALU_DEP_1)
	v_cmp_gt_u32_e64 s0, s8, v0
	s_and_b32 s0, s0, vcc_lo
	s_delay_alu instid0(SALU_CYCLE_1)
	s_and_b32 exec_lo, exec_lo, s0
	s_cbranch_execz .LBB127_41
; %bb.32:
	v_mad_u64_u32 v[6:7], null, v0, s4, 0
	s_delay_alu instid0(VALU_DEP_1) | instskip(NEXT) | instid1(VALU_DEP_1)
	v_mov_b32_e32 v1, v7
	v_mad_u64_u32 v[7:8], null, v0, s5, v[1:2]
	v_mad_u64_u32 v[8:9], null, v0, s2, 0
	s_delay_alu instid0(VALU_DEP_2) | instskip(NEXT) | instid1(VALU_DEP_2)
	v_lshlrev_b64 v[6:7], 1, v[6:7]
	v_mov_b32_e32 v1, v9
	s_delay_alu instid0(VALU_DEP_1) | instskip(NEXT) | instid1(VALU_DEP_3)
	v_mad_u64_u32 v[9:10], null, v0, s3, v[1:2]
	v_add_co_u32 v0, vcc_lo, v4, v6
	s_delay_alu instid0(VALU_DEP_4) | instskip(SKIP_2) | instid1(VALU_DEP_1)
	v_add_co_ci_u32_e32 v1, vcc_lo, v5, v7, vcc_lo
	global_load_u16 v4, v[0:1], off
	v_lshlrev_b64 v[0:1], 1, v[8:9]
	v_add_co_u32 v0, vcc_lo, v2, v0
	s_delay_alu instid0(VALU_DEP_2) | instskip(SKIP_3) | instid1(VALU_DEP_1)
	v_add_co_ci_u32_e32 v1, vcc_lo, v3, v1, vcc_lo
	global_load_u16 v2, v[0:1], off
	s_waitcnt vmcnt(1)
	v_lshlrev_b32_e32 v3, 16, v4
	v_mul_f32_e32 v3, s1, v3
	s_delay_alu instid0(VALU_DEP_1) | instskip(NEXT) | instid1(VALU_DEP_1)
	v_and_b32_e32 v4, 0x7f800000, v3
	v_cmp_ne_u32_e32 vcc_lo, 0x7f800000, v4
                                        ; implicit-def: $vgpr4
	s_and_saveexec_b32 s0, vcc_lo
	s_delay_alu instid0(SALU_CYCLE_1)
	s_xor_b32 s0, exec_lo, s0
; %bb.33:
	v_bfe_u32 v4, v3, 16, 1
	s_delay_alu instid0(VALU_DEP_1)
	v_add3_u32 v4, v3, v4, 0x7fff
                                        ; implicit-def: $vgpr3
; %bb.34:
	s_and_not1_saveexec_b32 s0, s0
; %bb.35:
	v_and_b32_e32 v4, 0xffff, v3
	v_or_b32_e32 v5, 0x10000, v3
	s_delay_alu instid0(VALU_DEP_2) | instskip(NEXT) | instid1(VALU_DEP_2)
	v_cmp_eq_u32_e32 vcc_lo, 0, v4
	v_cndmask_b32_e32 v4, v5, v3, vcc_lo
; %bb.36:
	s_or_b32 exec_lo, exec_lo, s0
	s_delay_alu instid0(VALU_DEP_1) | instskip(SKIP_2) | instid1(VALU_DEP_1)
	v_and_b32_e32 v3, 0xffff0000, v4
	s_waitcnt vmcnt(0)
	v_lshlrev_b32_e32 v2, 16, v2
	v_add_f32_e32 v2, v2, v3
	s_delay_alu instid0(VALU_DEP_1) | instskip(NEXT) | instid1(VALU_DEP_1)
	v_and_b32_e32 v3, 0x7f800000, v2
	v_cmp_ne_u32_e32 vcc_lo, 0x7f800000, v3
                                        ; implicit-def: $vgpr3
	s_and_saveexec_b32 s0, vcc_lo
	s_delay_alu instid0(SALU_CYCLE_1)
	s_xor_b32 s0, exec_lo, s0
; %bb.37:
	v_bfe_u32 v3, v2, 16, 1
	s_delay_alu instid0(VALU_DEP_1)
	v_add3_u32 v3, v2, v3, 0x7fff
                                        ; implicit-def: $vgpr2
; %bb.38:
	s_and_not1_saveexec_b32 s0, s0
; %bb.39:
	v_and_b32_e32 v3, 0xffff, v2
	v_or_b32_e32 v4, 0x10000, v2
	s_delay_alu instid0(VALU_DEP_2) | instskip(NEXT) | instid1(VALU_DEP_2)
	v_cmp_eq_u32_e32 vcc_lo, 0, v3
	v_cndmask_b32_e32 v3, v4, v2, vcc_lo
; %bb.40:
	s_or_b32 exec_lo, exec_lo, s0
	global_store_d16_hi_b16 v[0:1], v3, off
.LBB127_41:
	s_nop 0
	s_sendmsg sendmsg(MSG_DEALLOC_VGPRS)
	s_endpgm
	.section	.rodata,"a",@progbits
	.p2align	6, 0x0
	.amdhsa_kernel _ZL27rocblas_axpy_kernel_batchedIiLi128ELi8Ef16rocblas_bfloat16PKS0_PS0_EviT3_lT4_lT_lT5_lS6_li
		.amdhsa_group_segment_fixed_size 0
		.amdhsa_private_segment_fixed_size 0
		.amdhsa_kernarg_size 84
		.amdhsa_user_sgpr_count 14
		.amdhsa_user_sgpr_dispatch_ptr 0
		.amdhsa_user_sgpr_queue_ptr 0
		.amdhsa_user_sgpr_kernarg_segment_ptr 1
		.amdhsa_user_sgpr_dispatch_id 0
		.amdhsa_user_sgpr_private_segment_size 0
		.amdhsa_wavefront_size32 1
		.amdhsa_uses_dynamic_stack 0
		.amdhsa_enable_private_segment 0
		.amdhsa_system_sgpr_workgroup_id_x 1
		.amdhsa_system_sgpr_workgroup_id_y 0
		.amdhsa_system_sgpr_workgroup_id_z 1
		.amdhsa_system_sgpr_workgroup_info 0
		.amdhsa_system_vgpr_workitem_id 1
		.amdhsa_next_free_vgpr 12
		.amdhsa_next_free_sgpr 20
		.amdhsa_reserve_vcc 1
		.amdhsa_float_round_mode_32 0
		.amdhsa_float_round_mode_16_64 0
		.amdhsa_float_denorm_mode_32 3
		.amdhsa_float_denorm_mode_16_64 3
		.amdhsa_dx10_clamp 1
		.amdhsa_ieee_mode 1
		.amdhsa_fp16_overflow 0
		.amdhsa_workgroup_processor_mode 1
		.amdhsa_memory_ordered 1
		.amdhsa_forward_progress 0
		.amdhsa_shared_vgpr_count 0
		.amdhsa_exception_fp_ieee_invalid_op 0
		.amdhsa_exception_fp_denorm_src 0
		.amdhsa_exception_fp_ieee_div_zero 0
		.amdhsa_exception_fp_ieee_overflow 0
		.amdhsa_exception_fp_ieee_underflow 0
		.amdhsa_exception_fp_ieee_inexact 0
		.amdhsa_exception_int_div_zero 0
	.end_amdhsa_kernel
	.section	.text._ZL27rocblas_axpy_kernel_batchedIiLi128ELi8Ef16rocblas_bfloat16PKS0_PS0_EviT3_lT4_lT_lT5_lS6_li,"axG",@progbits,_ZL27rocblas_axpy_kernel_batchedIiLi128ELi8Ef16rocblas_bfloat16PKS0_PS0_EviT3_lT4_lT_lT5_lS6_li,comdat
.Lfunc_end127:
	.size	_ZL27rocblas_axpy_kernel_batchedIiLi128ELi8Ef16rocblas_bfloat16PKS0_PS0_EviT3_lT4_lT_lT5_lS6_li, .Lfunc_end127-_ZL27rocblas_axpy_kernel_batchedIiLi128ELi8Ef16rocblas_bfloat16PKS0_PS0_EviT3_lT4_lT_lT5_lS6_li
                                        ; -- End function
	.section	.AMDGPU.csdata,"",@progbits
; Kernel info:
; codeLenInByte = 1932
; NumSgprs: 22
; NumVgprs: 12
; ScratchSize: 0
; MemoryBound: 0
; FloatMode: 240
; IeeeMode: 1
; LDSByteSize: 0 bytes/workgroup (compile time only)
; SGPRBlocks: 2
; VGPRBlocks: 1
; NumSGPRsForWavesPerEU: 22
; NumVGPRsForWavesPerEU: 12
; Occupancy: 16
; WaveLimiterHint : 0
; COMPUTE_PGM_RSRC2:SCRATCH_EN: 0
; COMPUTE_PGM_RSRC2:USER_SGPR: 14
; COMPUTE_PGM_RSRC2:TRAP_HANDLER: 0
; COMPUTE_PGM_RSRC2:TGID_X_EN: 1
; COMPUTE_PGM_RSRC2:TGID_Y_EN: 0
; COMPUTE_PGM_RSRC2:TGID_Z_EN: 1
; COMPUTE_PGM_RSRC2:TIDIG_COMP_CNT: 1
	.section	.text._ZL19rocblas_axpy_kernelIiLi256EfPK16rocblas_bfloat16S2_PS0_EviT2_lT3_lT_lT4_lS6_li,"axG",@progbits,_ZL19rocblas_axpy_kernelIiLi256EfPK16rocblas_bfloat16S2_PS0_EviT2_lT3_lT_lT4_lS6_li,comdat
	.globl	_ZL19rocblas_axpy_kernelIiLi256EfPK16rocblas_bfloat16S2_PS0_EviT2_lT3_lT_lT4_lS6_li ; -- Begin function _ZL19rocblas_axpy_kernelIiLi256EfPK16rocblas_bfloat16S2_PS0_EviT2_lT3_lT_lT4_lS6_li
	.p2align	8
	.type	_ZL19rocblas_axpy_kernelIiLi256EfPK16rocblas_bfloat16S2_PS0_EviT2_lT3_lT_lT4_lS6_li,@function
_ZL19rocblas_axpy_kernelIiLi256EfPK16rocblas_bfloat16S2_PS0_EviT2_lT3_lT_lT4_lS6_li: ; @_ZL19rocblas_axpy_kernelIiLi256EfPK16rocblas_bfloat16S2_PS0_EviT2_lT3_lT_lT4_lS6_li
; %bb.0:
	s_clause 0x1
	s_load_b128 s[4:7], s[0:1], 0x8
	s_load_b32 s2, s[0:1], 0x0
	v_mov_b32_e32 v1, 0
	v_lshl_or_b32 v0, s14, 8, v0
	s_waitcnt lgkmcnt(0)
	s_mul_i32 s3, s15, s7
	s_mul_hi_u32 s7, s15, s6
	s_mul_i32 s6, s15, s6
	s_add_i32 s7, s7, s3
	s_ashr_i32 s3, s2, 31
	s_lshl_b64 s[6:7], s[6:7], 1
	v_cmp_gt_i64_e32 vcc_lo, s[2:3], v[0:1]
	s_add_u32 s4, s4, s6
	s_addc_u32 s5, s5, s7
	global_load_u16 v2, v1, s[4:5]
	s_waitcnt vmcnt(0)
	v_and_b32_e32 v3, 0x7fff, v2
	s_delay_alu instid0(VALU_DEP_1) | instskip(NEXT) | instid1(VALU_DEP_1)
	v_cmp_ne_u16_e64 s2, 0, v3
	s_and_b32 s2, vcc_lo, s2
	s_delay_alu instid0(SALU_CYCLE_1)
	s_and_saveexec_b32 s3, s2
	s_cbranch_execz .LBB128_10
; %bb.1:
	s_clause 0x5
	s_load_b32 s12, s[0:1], 0x28
	s_load_b128 s[4:7], s[0:1], 0x30
	s_load_b32 s13, s[0:1], 0x48
	s_load_b128 s[8:11], s[0:1], 0x18
	s_load_b64 s[2:3], s[0:1], 0x40
	s_load_b64 s[0:1], s[0:1], 0x50
	s_waitcnt lgkmcnt(0)
	v_mad_u64_u32 v[3:4], null, s12, v0, 0
	s_ashr_i32 s12, s12, 31
	s_mul_i32 s5, s15, s5
	s_mul_i32 s1, s15, s1
	s_delay_alu instid0(VALU_DEP_1) | instskip(NEXT) | instid1(VALU_DEP_1)
	v_mov_b32_e32 v1, v4
	v_mad_u64_u32 v[4:5], null, s12, v0, v[1:2]
	v_mad_u64_u32 v[5:6], null, s13, v0, 0
	s_mul_hi_u32 s12, s15, s4
	s_mul_i32 s4, s15, s4
	s_add_i32 s5, s12, s5
	s_ashr_i32 s12, s13, 31
	s_lshl_b64 s[4:5], s[4:5], 1
	s_delay_alu instid0(VALU_DEP_2) | instskip(SKIP_4) | instid1(SALU_CYCLE_1)
	v_lshlrev_b64 v[3:4], 1, v[3:4]
	s_add_u32 s8, s8, s4
	v_mov_b32_e32 v1, v6
	s_addc_u32 s9, s9, s5
	s_lshl_b64 s[4:5], s[10:11], 1
	s_add_u32 s4, s4, s8
	s_addc_u32 s5, s5, s9
	v_mad_u64_u32 v[6:7], null, s12, v0, v[1:2]
	v_add_co_u32 v0, vcc_lo, s4, v3
	v_add_co_ci_u32_e32 v1, vcc_lo, s5, v4, vcc_lo
	s_mul_hi_u32 s4, s15, s0
	s_mul_i32 s0, s15, s0
	s_add_i32 s1, s4, s1
	global_load_u16 v4, v[0:1], off
	s_lshl_b64 s[0:1], s[0:1], 1
	v_lshlrev_b64 v[0:1], 1, v[5:6]
	s_add_u32 s4, s6, s0
	s_addc_u32 s5, s7, s1
	s_lshl_b64 s[0:1], s[2:3], 1
	v_and_b32_e32 v2, 0xffff, v2
	s_add_u32 s0, s0, s4
	s_addc_u32 s1, s1, s5
	v_add_co_u32 v0, vcc_lo, s0, v0
	s_delay_alu instid0(VALU_DEP_2) | instskip(SKIP_4) | instid1(VALU_DEP_1)
	v_lshlrev_b32_e32 v2, 16, v2
	v_add_co_ci_u32_e32 v1, vcc_lo, s1, v1, vcc_lo
	global_load_u16 v3, v[0:1], off
	s_waitcnt vmcnt(1)
	v_lshlrev_b32_e32 v4, 16, v4
	v_mul_f32_e32 v2, v2, v4
	s_delay_alu instid0(VALU_DEP_1) | instskip(NEXT) | instid1(VALU_DEP_1)
	v_and_b32_e32 v4, 0x7f800000, v2
	v_cmp_ne_u32_e32 vcc_lo, 0x7f800000, v4
                                        ; implicit-def: $vgpr4
	s_and_saveexec_b32 s0, vcc_lo
	s_delay_alu instid0(SALU_CYCLE_1)
	s_xor_b32 s0, exec_lo, s0
; %bb.2:
	v_bfe_u32 v4, v2, 16, 1
	s_delay_alu instid0(VALU_DEP_1)
	v_add3_u32 v4, v2, v4, 0x7fff
                                        ; implicit-def: $vgpr2
; %bb.3:
	s_and_not1_saveexec_b32 s0, s0
; %bb.4:
	v_and_b32_e32 v4, 0xffff, v2
	v_or_b32_e32 v5, 0x10000, v2
	s_delay_alu instid0(VALU_DEP_2) | instskip(NEXT) | instid1(VALU_DEP_2)
	v_cmp_eq_u32_e32 vcc_lo, 0, v4
	v_cndmask_b32_e32 v4, v5, v2, vcc_lo
; %bb.5:
	s_or_b32 exec_lo, exec_lo, s0
	s_delay_alu instid0(VALU_DEP_1) | instskip(SKIP_2) | instid1(VALU_DEP_1)
	v_and_b32_e32 v2, 0xffff0000, v4
	s_waitcnt vmcnt(0)
	v_lshlrev_b32_e32 v3, 16, v3
	v_add_f32_e32 v2, v3, v2
	s_delay_alu instid0(VALU_DEP_1) | instskip(NEXT) | instid1(VALU_DEP_1)
	v_and_b32_e32 v3, 0x7f800000, v2
	v_cmp_ne_u32_e32 vcc_lo, 0x7f800000, v3
                                        ; implicit-def: $vgpr3
	s_and_saveexec_b32 s0, vcc_lo
	s_delay_alu instid0(SALU_CYCLE_1)
	s_xor_b32 s0, exec_lo, s0
; %bb.6:
	v_bfe_u32 v3, v2, 16, 1
	s_delay_alu instid0(VALU_DEP_1)
	v_add3_u32 v3, v2, v3, 0x7fff
                                        ; implicit-def: $vgpr2
; %bb.7:
	s_and_not1_saveexec_b32 s0, s0
; %bb.8:
	v_and_b32_e32 v3, 0xffff, v2
	v_or_b32_e32 v4, 0x10000, v2
	s_delay_alu instid0(VALU_DEP_2) | instskip(NEXT) | instid1(VALU_DEP_2)
	v_cmp_eq_u32_e32 vcc_lo, 0, v3
	v_cndmask_b32_e32 v3, v4, v2, vcc_lo
; %bb.9:
	s_or_b32 exec_lo, exec_lo, s0
	global_store_d16_hi_b16 v[0:1], v3, off
.LBB128_10:
	s_nop 0
	s_sendmsg sendmsg(MSG_DEALLOC_VGPRS)
	s_endpgm
	.section	.rodata,"a",@progbits
	.p2align	6, 0x0
	.amdhsa_kernel _ZL19rocblas_axpy_kernelIiLi256EfPK16rocblas_bfloat16S2_PS0_EviT2_lT3_lT_lT4_lS6_li
		.amdhsa_group_segment_fixed_size 0
		.amdhsa_private_segment_fixed_size 0
		.amdhsa_kernarg_size 92
		.amdhsa_user_sgpr_count 14
		.amdhsa_user_sgpr_dispatch_ptr 0
		.amdhsa_user_sgpr_queue_ptr 0
		.amdhsa_user_sgpr_kernarg_segment_ptr 1
		.amdhsa_user_sgpr_dispatch_id 0
		.amdhsa_user_sgpr_private_segment_size 0
		.amdhsa_wavefront_size32 1
		.amdhsa_uses_dynamic_stack 0
		.amdhsa_enable_private_segment 0
		.amdhsa_system_sgpr_workgroup_id_x 1
		.amdhsa_system_sgpr_workgroup_id_y 0
		.amdhsa_system_sgpr_workgroup_id_z 1
		.amdhsa_system_sgpr_workgroup_info 0
		.amdhsa_system_vgpr_workitem_id 0
		.amdhsa_next_free_vgpr 8
		.amdhsa_next_free_sgpr 16
		.amdhsa_reserve_vcc 1
		.amdhsa_float_round_mode_32 0
		.amdhsa_float_round_mode_16_64 0
		.amdhsa_float_denorm_mode_32 3
		.amdhsa_float_denorm_mode_16_64 3
		.amdhsa_dx10_clamp 1
		.amdhsa_ieee_mode 1
		.amdhsa_fp16_overflow 0
		.amdhsa_workgroup_processor_mode 1
		.amdhsa_memory_ordered 1
		.amdhsa_forward_progress 0
		.amdhsa_shared_vgpr_count 0
		.amdhsa_exception_fp_ieee_invalid_op 0
		.amdhsa_exception_fp_denorm_src 0
		.amdhsa_exception_fp_ieee_div_zero 0
		.amdhsa_exception_fp_ieee_overflow 0
		.amdhsa_exception_fp_ieee_underflow 0
		.amdhsa_exception_fp_ieee_inexact 0
		.amdhsa_exception_int_div_zero 0
	.end_amdhsa_kernel
	.section	.text._ZL19rocblas_axpy_kernelIiLi256EfPK16rocblas_bfloat16S2_PS0_EviT2_lT3_lT_lT4_lS6_li,"axG",@progbits,_ZL19rocblas_axpy_kernelIiLi256EfPK16rocblas_bfloat16S2_PS0_EviT2_lT3_lT_lT4_lS6_li,comdat
.Lfunc_end128:
	.size	_ZL19rocblas_axpy_kernelIiLi256EfPK16rocblas_bfloat16S2_PS0_EviT2_lT3_lT_lT4_lS6_li, .Lfunc_end128-_ZL19rocblas_axpy_kernelIiLi256EfPK16rocblas_bfloat16S2_PS0_EviT2_lT3_lT_lT4_lS6_li
                                        ; -- End function
	.section	.AMDGPU.csdata,"",@progbits
; Kernel info:
; codeLenInByte = 624
; NumSgprs: 18
; NumVgprs: 8
; ScratchSize: 0
; MemoryBound: 0
; FloatMode: 240
; IeeeMode: 1
; LDSByteSize: 0 bytes/workgroup (compile time only)
; SGPRBlocks: 2
; VGPRBlocks: 0
; NumSGPRsForWavesPerEU: 18
; NumVGPRsForWavesPerEU: 8
; Occupancy: 16
; WaveLimiterHint : 0
; COMPUTE_PGM_RSRC2:SCRATCH_EN: 0
; COMPUTE_PGM_RSRC2:USER_SGPR: 14
; COMPUTE_PGM_RSRC2:TRAP_HANDLER: 0
; COMPUTE_PGM_RSRC2:TGID_X_EN: 1
; COMPUTE_PGM_RSRC2:TGID_Y_EN: 0
; COMPUTE_PGM_RSRC2:TGID_Z_EN: 1
; COMPUTE_PGM_RSRC2:TIDIG_COMP_CNT: 0
	.section	.text._ZL19rocblas_axpy_kernelIiLi256Ef16rocblas_bfloat16PKS0_PS0_EviT2_lT3_lT_lT4_lS6_li,"axG",@progbits,_ZL19rocblas_axpy_kernelIiLi256Ef16rocblas_bfloat16PKS0_PS0_EviT2_lT3_lT_lT4_lS6_li,comdat
	.globl	_ZL19rocblas_axpy_kernelIiLi256Ef16rocblas_bfloat16PKS0_PS0_EviT2_lT3_lT_lT4_lS6_li ; -- Begin function _ZL19rocblas_axpy_kernelIiLi256Ef16rocblas_bfloat16PKS0_PS0_EviT2_lT3_lT_lT4_lS6_li
	.p2align	8
	.type	_ZL19rocblas_axpy_kernelIiLi256Ef16rocblas_bfloat16PKS0_PS0_EviT2_lT3_lT_lT4_lS6_li,@function
_ZL19rocblas_axpy_kernelIiLi256Ef16rocblas_bfloat16PKS0_PS0_EviT2_lT3_lT_lT4_lS6_li: ; @_ZL19rocblas_axpy_kernelIiLi256Ef16rocblas_bfloat16PKS0_PS0_EviT2_lT3_lT_lT4_lS6_li
; %bb.0:
	s_load_b64 s[2:3], s[0:1], 0x0
	v_lshl_or_b32 v0, s14, 8, v0
	v_mov_b32_e32 v1, 0
	s_waitcnt lgkmcnt(0)
	v_and_b32_e64 v2, 0x7fff, s3
	s_ashr_i32 s5, s2, 31
	s_mov_b32 s4, s2
	s_delay_alu instid0(SALU_CYCLE_1) | instskip(NEXT) | instid1(VALU_DEP_2)
	v_cmp_gt_i64_e32 vcc_lo, s[4:5], v[0:1]
	v_cmp_ne_u16_e64 s2, 0, v2
	s_delay_alu instid0(VALU_DEP_1) | instskip(NEXT) | instid1(SALU_CYCLE_1)
	s_and_b32 s2, vcc_lo, s2
	s_and_saveexec_b32 s4, s2
	s_cbranch_execz .LBB129_10
; %bb.1:
	s_clause 0x3
	s_load_b32 s12, s[0:1], 0x20
	s_load_b128 s[4:7], s[0:1], 0x28
	s_load_b32 s13, s[0:1], 0x40
	s_load_b128 s[8:11], s[0:1], 0x10
	s_and_b32 s14, s3, 0xffff
	s_clause 0x1
	s_load_b64 s[2:3], s[0:1], 0x38
	s_load_b64 s[0:1], s[0:1], 0x48
	s_waitcnt lgkmcnt(0)
	v_mad_u64_u32 v[1:2], null, s12, v0, 0
	s_ashr_i32 s12, s12, 31
	s_mul_i32 s5, s15, s5
	s_mul_i32 s1, s15, s1
	s_delay_alu instid0(VALU_DEP_1)
	v_mad_u64_u32 v[3:4], null, s12, v0, v[2:3]
	v_mad_u64_u32 v[4:5], null, s13, v0, 0
	s_mul_hi_u32 s12, s15, s4
	s_mul_i32 s4, s15, s4
	s_add_i32 s5, s12, s5
	s_ashr_i32 s12, s13, 31
	s_delay_alu instid0(VALU_DEP_2) | instskip(SKIP_1) | instid1(VALU_DEP_2)
	v_mov_b32_e32 v2, v3
	s_lshl_b64 s[4:5], s[4:5], 1
	v_mov_b32_e32 v3, v5
	s_add_u32 s8, s8, s4
	s_addc_u32 s9, s9, s5
	v_lshlrev_b64 v[1:2], 1, v[1:2]
	s_lshl_b64 s[4:5], s[10:11], 1
	v_mad_u64_u32 v[5:6], null, s12, v0, v[3:4]
	s_add_u32 s4, s4, s8
	s_addc_u32 s5, s5, s9
	s_delay_alu instid0(VALU_DEP_2)
	v_add_co_u32 v0, vcc_lo, s4, v1
	v_add_co_ci_u32_e32 v1, vcc_lo, s5, v2, vcc_lo
	s_mul_hi_u32 s4, s15, s0
	s_mul_i32 s0, s15, s0
	s_add_i32 s1, s4, s1
	global_load_u16 v3, v[0:1], off
	s_lshl_b64 s[0:1], s[0:1], 1
	v_lshlrev_b64 v[0:1], 1, v[4:5]
	s_add_u32 s4, s6, s0
	s_addc_u32 s5, s7, s1
	s_lshl_b64 s[0:1], s[2:3], 1
	s_delay_alu instid0(SALU_CYCLE_1)
	s_add_u32 s0, s0, s4
	s_addc_u32 s1, s1, s5
	v_add_co_u32 v0, vcc_lo, s0, v0
	v_add_co_ci_u32_e32 v1, vcc_lo, s1, v1, vcc_lo
	s_lshl_b32 s0, s14, 16
	global_load_u16 v2, v[0:1], off
	s_waitcnt vmcnt(1)
	v_lshlrev_b32_e32 v3, 16, v3
	s_delay_alu instid0(VALU_DEP_1) | instskip(NEXT) | instid1(VALU_DEP_1)
	v_mul_f32_e32 v3, s0, v3
	v_and_b32_e32 v4, 0x7f800000, v3
	s_delay_alu instid0(VALU_DEP_1) | instskip(SKIP_1) | instid1(SALU_CYCLE_1)
	v_cmp_ne_u32_e32 vcc_lo, 0x7f800000, v4
                                        ; implicit-def: $vgpr4
	s_and_saveexec_b32 s0, vcc_lo
	s_xor_b32 s0, exec_lo, s0
; %bb.2:
	v_bfe_u32 v4, v3, 16, 1
	s_delay_alu instid0(VALU_DEP_1)
	v_add3_u32 v4, v3, v4, 0x7fff
                                        ; implicit-def: $vgpr3
; %bb.3:
	s_and_not1_saveexec_b32 s0, s0
; %bb.4:
	v_and_b32_e32 v4, 0xffff, v3
	v_or_b32_e32 v5, 0x10000, v3
	s_delay_alu instid0(VALU_DEP_2) | instskip(NEXT) | instid1(VALU_DEP_2)
	v_cmp_eq_u32_e32 vcc_lo, 0, v4
	v_cndmask_b32_e32 v4, v5, v3, vcc_lo
; %bb.5:
	s_or_b32 exec_lo, exec_lo, s0
	s_delay_alu instid0(VALU_DEP_1) | instskip(SKIP_2) | instid1(VALU_DEP_1)
	v_and_b32_e32 v3, 0xffff0000, v4
	s_waitcnt vmcnt(0)
	v_lshlrev_b32_e32 v2, 16, v2
	v_add_f32_e32 v2, v2, v3
	s_delay_alu instid0(VALU_DEP_1) | instskip(NEXT) | instid1(VALU_DEP_1)
	v_and_b32_e32 v3, 0x7f800000, v2
	v_cmp_ne_u32_e32 vcc_lo, 0x7f800000, v3
                                        ; implicit-def: $vgpr3
	s_and_saveexec_b32 s0, vcc_lo
	s_delay_alu instid0(SALU_CYCLE_1)
	s_xor_b32 s0, exec_lo, s0
; %bb.6:
	v_bfe_u32 v3, v2, 16, 1
	s_delay_alu instid0(VALU_DEP_1)
	v_add3_u32 v3, v2, v3, 0x7fff
                                        ; implicit-def: $vgpr2
; %bb.7:
	s_and_not1_saveexec_b32 s0, s0
; %bb.8:
	v_and_b32_e32 v3, 0xffff, v2
	v_or_b32_e32 v4, 0x10000, v2
	s_delay_alu instid0(VALU_DEP_2) | instskip(NEXT) | instid1(VALU_DEP_2)
	v_cmp_eq_u32_e32 vcc_lo, 0, v3
	v_cndmask_b32_e32 v3, v4, v2, vcc_lo
; %bb.9:
	s_or_b32 exec_lo, exec_lo, s0
	global_store_d16_hi_b16 v[0:1], v3, off
.LBB129_10:
	s_nop 0
	s_sendmsg sendmsg(MSG_DEALLOC_VGPRS)
	s_endpgm
	.section	.rodata,"a",@progbits
	.p2align	6, 0x0
	.amdhsa_kernel _ZL19rocblas_axpy_kernelIiLi256Ef16rocblas_bfloat16PKS0_PS0_EviT2_lT3_lT_lT4_lS6_li
		.amdhsa_group_segment_fixed_size 0
		.amdhsa_private_segment_fixed_size 0
		.amdhsa_kernarg_size 84
		.amdhsa_user_sgpr_count 14
		.amdhsa_user_sgpr_dispatch_ptr 0
		.amdhsa_user_sgpr_queue_ptr 0
		.amdhsa_user_sgpr_kernarg_segment_ptr 1
		.amdhsa_user_sgpr_dispatch_id 0
		.amdhsa_user_sgpr_private_segment_size 0
		.amdhsa_wavefront_size32 1
		.amdhsa_uses_dynamic_stack 0
		.amdhsa_enable_private_segment 0
		.amdhsa_system_sgpr_workgroup_id_x 1
		.amdhsa_system_sgpr_workgroup_id_y 0
		.amdhsa_system_sgpr_workgroup_id_z 1
		.amdhsa_system_sgpr_workgroup_info 0
		.amdhsa_system_vgpr_workitem_id 0
		.amdhsa_next_free_vgpr 7
		.amdhsa_next_free_sgpr 16
		.amdhsa_reserve_vcc 1
		.amdhsa_float_round_mode_32 0
		.amdhsa_float_round_mode_16_64 0
		.amdhsa_float_denorm_mode_32 3
		.amdhsa_float_denorm_mode_16_64 3
		.amdhsa_dx10_clamp 1
		.amdhsa_ieee_mode 1
		.amdhsa_fp16_overflow 0
		.amdhsa_workgroup_processor_mode 1
		.amdhsa_memory_ordered 1
		.amdhsa_forward_progress 0
		.amdhsa_shared_vgpr_count 0
		.amdhsa_exception_fp_ieee_invalid_op 0
		.amdhsa_exception_fp_denorm_src 0
		.amdhsa_exception_fp_ieee_div_zero 0
		.amdhsa_exception_fp_ieee_overflow 0
		.amdhsa_exception_fp_ieee_underflow 0
		.amdhsa_exception_fp_ieee_inexact 0
		.amdhsa_exception_int_div_zero 0
	.end_amdhsa_kernel
	.section	.text._ZL19rocblas_axpy_kernelIiLi256Ef16rocblas_bfloat16PKS0_PS0_EviT2_lT3_lT_lT4_lS6_li,"axG",@progbits,_ZL19rocblas_axpy_kernelIiLi256Ef16rocblas_bfloat16PKS0_PS0_EviT2_lT3_lT_lT4_lS6_li,comdat
.Lfunc_end129:
	.size	_ZL19rocblas_axpy_kernelIiLi256Ef16rocblas_bfloat16PKS0_PS0_EviT2_lT3_lT_lT4_lS6_li, .Lfunc_end129-_ZL19rocblas_axpy_kernelIiLi256Ef16rocblas_bfloat16PKS0_PS0_EviT2_lT3_lT_lT4_lS6_li
                                        ; -- End function
	.section	.AMDGPU.csdata,"",@progbits
; Kernel info:
; codeLenInByte = 588
; NumSgprs: 18
; NumVgprs: 7
; ScratchSize: 0
; MemoryBound: 0
; FloatMode: 240
; IeeeMode: 1
; LDSByteSize: 0 bytes/workgroup (compile time only)
; SGPRBlocks: 2
; VGPRBlocks: 0
; NumSGPRsForWavesPerEU: 18
; NumVGPRsForWavesPerEU: 7
; Occupancy: 16
; WaveLimiterHint : 0
; COMPUTE_PGM_RSRC2:SCRATCH_EN: 0
; COMPUTE_PGM_RSRC2:USER_SGPR: 14
; COMPUTE_PGM_RSRC2:TRAP_HANDLER: 0
; COMPUTE_PGM_RSRC2:TGID_X_EN: 1
; COMPUTE_PGM_RSRC2:TGID_Y_EN: 0
; COMPUTE_PGM_RSRC2:TGID_Z_EN: 1
; COMPUTE_PGM_RSRC2:TIDIG_COMP_CNT: 0
	.section	.text._ZL19rocblas_axpy_kernelIlLi256EfPK16rocblas_bfloat16S2_PS0_EviT2_lT3_lT_lT4_lS6_li,"axG",@progbits,_ZL19rocblas_axpy_kernelIlLi256EfPK16rocblas_bfloat16S2_PS0_EviT2_lT3_lT_lT4_lS6_li,comdat
	.globl	_ZL19rocblas_axpy_kernelIlLi256EfPK16rocblas_bfloat16S2_PS0_EviT2_lT3_lT_lT4_lS6_li ; -- Begin function _ZL19rocblas_axpy_kernelIlLi256EfPK16rocblas_bfloat16S2_PS0_EviT2_lT3_lT_lT4_lS6_li
	.p2align	8
	.type	_ZL19rocblas_axpy_kernelIlLi256EfPK16rocblas_bfloat16S2_PS0_EviT2_lT3_lT_lT4_lS6_li,@function
_ZL19rocblas_axpy_kernelIlLi256EfPK16rocblas_bfloat16S2_PS0_EviT2_lT3_lT_lT4_lS6_li: ; @_ZL19rocblas_axpy_kernelIlLi256EfPK16rocblas_bfloat16S2_PS0_EviT2_lT3_lT_lT4_lS6_li
; %bb.0:
	s_clause 0x1
	s_load_b128 s[4:7], s[0:1], 0x8
	s_load_b32 s2, s[0:1], 0x0
	v_mov_b32_e32 v1, 0
	v_lshl_or_b32 v0, s14, 8, v0
	s_waitcnt lgkmcnt(0)
	s_mul_i32 s3, s15, s7
	s_mul_hi_u32 s7, s15, s6
	s_mul_i32 s6, s15, s6
	s_add_i32 s7, s7, s3
	s_ashr_i32 s3, s2, 31
	s_lshl_b64 s[6:7], s[6:7], 1
	v_cmp_gt_i64_e32 vcc_lo, s[2:3], v[0:1]
	s_add_u32 s4, s4, s6
	s_addc_u32 s5, s5, s7
	global_load_u16 v2, v1, s[4:5]
	s_waitcnt vmcnt(0)
	v_and_b32_e32 v3, 0x7fff, v2
	s_delay_alu instid0(VALU_DEP_1) | instskip(NEXT) | instid1(VALU_DEP_1)
	v_cmp_ne_u16_e64 s2, 0, v3
	s_and_b32 s2, vcc_lo, s2
	s_delay_alu instid0(SALU_CYCLE_1)
	s_and_saveexec_b32 s3, s2
	s_cbranch_execz .LBB130_10
; %bb.1:
	s_clause 0x3
	s_load_b128 s[16:19], s[0:1], 0x20
	s_load_b256 s[4:11], s[0:1], 0x30
	s_load_b64 s[2:3], s[0:1], 0x18
	s_load_b64 s[0:1], s[0:1], 0x50
	s_waitcnt lgkmcnt(0)
	v_mad_u64_u32 v[3:4], null, v0, s18, 0
	s_mul_i32 s5, s15, s5
	s_mul_hi_u32 s12, s15, s4
	s_mul_i32 s4, s15, s4
	s_add_i32 s5, s12, s5
	s_mul_i32 s1, s15, s1
	s_lshl_b64 s[4:5], s[4:5], 1
	s_delay_alu instid0(VALU_DEP_1) | instskip(SKIP_3) | instid1(SALU_CYCLE_1)
	v_mov_b32_e32 v1, v4
	s_add_u32 s4, s2, s4
	s_addc_u32 s5, s3, s5
	s_lshl_b64 s[2:3], s[16:17], 1
	s_add_u32 s2, s2, s4
	v_mad_u64_u32 v[4:5], null, v0, s19, v[1:2]
	v_mad_u64_u32 v[5:6], null, v0, s10, 0
	s_addc_u32 s3, s3, s5
	s_delay_alu instid0(VALU_DEP_2) | instskip(NEXT) | instid1(VALU_DEP_2)
	v_lshlrev_b64 v[3:4], 1, v[3:4]
	v_mov_b32_e32 v1, v6
	s_delay_alu instid0(VALU_DEP_1) | instskip(NEXT) | instid1(VALU_DEP_3)
	v_mad_u64_u32 v[6:7], null, v0, s11, v[1:2]
	v_add_co_u32 v0, vcc_lo, s2, v3
	s_delay_alu instid0(VALU_DEP_4)
	v_add_co_ci_u32_e32 v1, vcc_lo, s3, v4, vcc_lo
	s_mul_hi_u32 s2, s15, s0
	s_mul_i32 s0, s15, s0
	s_add_i32 s1, s2, s1
	global_load_u16 v4, v[0:1], off
	s_lshl_b64 s[0:1], s[0:1], 1
	v_lshlrev_b64 v[0:1], 1, v[5:6]
	s_add_u32 s2, s6, s0
	s_addc_u32 s3, s7, s1
	s_lshl_b64 s[0:1], s[8:9], 1
	v_and_b32_e32 v2, 0xffff, v2
	s_add_u32 s0, s0, s2
	s_addc_u32 s1, s1, s3
	v_add_co_u32 v0, vcc_lo, s0, v0
	s_delay_alu instid0(VALU_DEP_2) | instskip(SKIP_4) | instid1(VALU_DEP_1)
	v_lshlrev_b32_e32 v2, 16, v2
	v_add_co_ci_u32_e32 v1, vcc_lo, s1, v1, vcc_lo
	global_load_u16 v3, v[0:1], off
	s_waitcnt vmcnt(1)
	v_lshlrev_b32_e32 v4, 16, v4
	v_mul_f32_e32 v2, v2, v4
	s_delay_alu instid0(VALU_DEP_1) | instskip(NEXT) | instid1(VALU_DEP_1)
	v_and_b32_e32 v4, 0x7f800000, v2
	v_cmp_ne_u32_e32 vcc_lo, 0x7f800000, v4
                                        ; implicit-def: $vgpr4
	s_and_saveexec_b32 s0, vcc_lo
	s_delay_alu instid0(SALU_CYCLE_1)
	s_xor_b32 s0, exec_lo, s0
; %bb.2:
	v_bfe_u32 v4, v2, 16, 1
	s_delay_alu instid0(VALU_DEP_1)
	v_add3_u32 v4, v2, v4, 0x7fff
                                        ; implicit-def: $vgpr2
; %bb.3:
	s_and_not1_saveexec_b32 s0, s0
; %bb.4:
	v_and_b32_e32 v4, 0xffff, v2
	v_or_b32_e32 v5, 0x10000, v2
	s_delay_alu instid0(VALU_DEP_2) | instskip(NEXT) | instid1(VALU_DEP_2)
	v_cmp_eq_u32_e32 vcc_lo, 0, v4
	v_cndmask_b32_e32 v4, v5, v2, vcc_lo
; %bb.5:
	s_or_b32 exec_lo, exec_lo, s0
	s_delay_alu instid0(VALU_DEP_1) | instskip(SKIP_2) | instid1(VALU_DEP_1)
	v_and_b32_e32 v2, 0xffff0000, v4
	s_waitcnt vmcnt(0)
	v_lshlrev_b32_e32 v3, 16, v3
	v_add_f32_e32 v2, v3, v2
	s_delay_alu instid0(VALU_DEP_1) | instskip(NEXT) | instid1(VALU_DEP_1)
	v_and_b32_e32 v3, 0x7f800000, v2
	v_cmp_ne_u32_e32 vcc_lo, 0x7f800000, v3
                                        ; implicit-def: $vgpr3
	s_and_saveexec_b32 s0, vcc_lo
	s_delay_alu instid0(SALU_CYCLE_1)
	s_xor_b32 s0, exec_lo, s0
; %bb.6:
	v_bfe_u32 v3, v2, 16, 1
	s_delay_alu instid0(VALU_DEP_1)
	v_add3_u32 v3, v2, v3, 0x7fff
                                        ; implicit-def: $vgpr2
; %bb.7:
	s_and_not1_saveexec_b32 s0, s0
; %bb.8:
	v_and_b32_e32 v3, 0xffff, v2
	v_or_b32_e32 v4, 0x10000, v2
	s_delay_alu instid0(VALU_DEP_2) | instskip(NEXT) | instid1(VALU_DEP_2)
	v_cmp_eq_u32_e32 vcc_lo, 0, v3
	v_cndmask_b32_e32 v3, v4, v2, vcc_lo
; %bb.9:
	s_or_b32 exec_lo, exec_lo, s0
	global_store_d16_hi_b16 v[0:1], v3, off
.LBB130_10:
	s_nop 0
	s_sendmsg sendmsg(MSG_DEALLOC_VGPRS)
	s_endpgm
	.section	.rodata,"a",@progbits
	.p2align	6, 0x0
	.amdhsa_kernel _ZL19rocblas_axpy_kernelIlLi256EfPK16rocblas_bfloat16S2_PS0_EviT2_lT3_lT_lT4_lS6_li
		.amdhsa_group_segment_fixed_size 0
		.amdhsa_private_segment_fixed_size 0
		.amdhsa_kernarg_size 92
		.amdhsa_user_sgpr_count 14
		.amdhsa_user_sgpr_dispatch_ptr 0
		.amdhsa_user_sgpr_queue_ptr 0
		.amdhsa_user_sgpr_kernarg_segment_ptr 1
		.amdhsa_user_sgpr_dispatch_id 0
		.amdhsa_user_sgpr_private_segment_size 0
		.amdhsa_wavefront_size32 1
		.amdhsa_uses_dynamic_stack 0
		.amdhsa_enable_private_segment 0
		.amdhsa_system_sgpr_workgroup_id_x 1
		.amdhsa_system_sgpr_workgroup_id_y 0
		.amdhsa_system_sgpr_workgroup_id_z 1
		.amdhsa_system_sgpr_workgroup_info 0
		.amdhsa_system_vgpr_workitem_id 0
		.amdhsa_next_free_vgpr 8
		.amdhsa_next_free_sgpr 20
		.amdhsa_reserve_vcc 1
		.amdhsa_float_round_mode_32 0
		.amdhsa_float_round_mode_16_64 0
		.amdhsa_float_denorm_mode_32 3
		.amdhsa_float_denorm_mode_16_64 3
		.amdhsa_dx10_clamp 1
		.amdhsa_ieee_mode 1
		.amdhsa_fp16_overflow 0
		.amdhsa_workgroup_processor_mode 1
		.amdhsa_memory_ordered 1
		.amdhsa_forward_progress 0
		.amdhsa_shared_vgpr_count 0
		.amdhsa_exception_fp_ieee_invalid_op 0
		.amdhsa_exception_fp_denorm_src 0
		.amdhsa_exception_fp_ieee_div_zero 0
		.amdhsa_exception_fp_ieee_overflow 0
		.amdhsa_exception_fp_ieee_underflow 0
		.amdhsa_exception_fp_ieee_inexact 0
		.amdhsa_exception_int_div_zero 0
	.end_amdhsa_kernel
	.section	.text._ZL19rocblas_axpy_kernelIlLi256EfPK16rocblas_bfloat16S2_PS0_EviT2_lT3_lT_lT4_lS6_li,"axG",@progbits,_ZL19rocblas_axpy_kernelIlLi256EfPK16rocblas_bfloat16S2_PS0_EviT2_lT3_lT_lT4_lS6_li,comdat
.Lfunc_end130:
	.size	_ZL19rocblas_axpy_kernelIlLi256EfPK16rocblas_bfloat16S2_PS0_EviT2_lT3_lT_lT4_lS6_li, .Lfunc_end130-_ZL19rocblas_axpy_kernelIlLi256EfPK16rocblas_bfloat16S2_PS0_EviT2_lT3_lT_lT4_lS6_li
                                        ; -- End function
	.section	.AMDGPU.csdata,"",@progbits
; Kernel info:
; codeLenInByte = 608
; NumSgprs: 22
; NumVgprs: 8
; ScratchSize: 0
; MemoryBound: 0
; FloatMode: 240
; IeeeMode: 1
; LDSByteSize: 0 bytes/workgroup (compile time only)
; SGPRBlocks: 2
; VGPRBlocks: 0
; NumSGPRsForWavesPerEU: 22
; NumVGPRsForWavesPerEU: 8
; Occupancy: 16
; WaveLimiterHint : 0
; COMPUTE_PGM_RSRC2:SCRATCH_EN: 0
; COMPUTE_PGM_RSRC2:USER_SGPR: 14
; COMPUTE_PGM_RSRC2:TRAP_HANDLER: 0
; COMPUTE_PGM_RSRC2:TGID_X_EN: 1
; COMPUTE_PGM_RSRC2:TGID_Y_EN: 0
; COMPUTE_PGM_RSRC2:TGID_Z_EN: 1
; COMPUTE_PGM_RSRC2:TIDIG_COMP_CNT: 0
	.section	.text._ZL19rocblas_axpy_kernelIlLi256Ef16rocblas_bfloat16PKS0_PS0_EviT2_lT3_lT_lT4_lS6_li,"axG",@progbits,_ZL19rocblas_axpy_kernelIlLi256Ef16rocblas_bfloat16PKS0_PS0_EviT2_lT3_lT_lT4_lS6_li,comdat
	.globl	_ZL19rocblas_axpy_kernelIlLi256Ef16rocblas_bfloat16PKS0_PS0_EviT2_lT3_lT_lT4_lS6_li ; -- Begin function _ZL19rocblas_axpy_kernelIlLi256Ef16rocblas_bfloat16PKS0_PS0_EviT2_lT3_lT_lT4_lS6_li
	.p2align	8
	.type	_ZL19rocblas_axpy_kernelIlLi256Ef16rocblas_bfloat16PKS0_PS0_EviT2_lT3_lT_lT4_lS6_li,@function
_ZL19rocblas_axpy_kernelIlLi256Ef16rocblas_bfloat16PKS0_PS0_EviT2_lT3_lT_lT4_lS6_li: ; @_ZL19rocblas_axpy_kernelIlLi256Ef16rocblas_bfloat16PKS0_PS0_EviT2_lT3_lT_lT4_lS6_li
; %bb.0:
	s_load_b64 s[2:3], s[0:1], 0x0
	v_lshl_or_b32 v0, s14, 8, v0
	v_mov_b32_e32 v1, 0
	s_waitcnt lgkmcnt(0)
	v_and_b32_e64 v2, 0x7fff, s3
	s_ashr_i32 s5, s2, 31
	s_mov_b32 s4, s2
	s_delay_alu instid0(SALU_CYCLE_1) | instskip(NEXT) | instid1(VALU_DEP_2)
	v_cmp_gt_i64_e32 vcc_lo, s[4:5], v[0:1]
	v_cmp_ne_u16_e64 s2, 0, v2
	s_delay_alu instid0(VALU_DEP_1) | instskip(NEXT) | instid1(SALU_CYCLE_1)
	s_and_b32 s2, vcc_lo, s2
	s_and_saveexec_b32 s4, s2
	s_cbranch_execz .LBB131_10
; %bb.1:
	s_clause 0x3
	s_load_b128 s[16:19], s[0:1], 0x18
	s_load_b256 s[4:11], s[0:1], 0x28
	s_load_b64 s[12:13], s[0:1], 0x10
	s_load_b64 s[0:1], s[0:1], 0x48
	s_waitcnt lgkmcnt(0)
	v_mad_u64_u32 v[1:2], null, v0, s18, 0
	s_mul_i32 s2, s15, s5
	s_mul_hi_u32 s5, s15, s4
	s_mul_i32 s4, s15, s4
	s_add_i32 s5, s5, s2
	s_mul_i32 s1, s15, s1
	s_delay_alu instid0(VALU_DEP_1) | instskip(SKIP_3) | instid1(SALU_CYCLE_1)
	v_mad_u64_u32 v[3:4], null, v0, s19, v[2:3]
	v_mad_u64_u32 v[4:5], null, v0, s10, 0
	s_and_b32 s10, s3, 0xffff
	s_lshl_b64 s[2:3], s[4:5], 1
	s_add_u32 s4, s12, s2
	s_delay_alu instid0(VALU_DEP_2) | instskip(SKIP_1) | instid1(VALU_DEP_2)
	v_mov_b32_e32 v2, v3
	s_addc_u32 s5, s13, s3
	v_mov_b32_e32 v3, v5
	s_lshl_b64 s[2:3], s[16:17], 1
	s_delay_alu instid0(SALU_CYCLE_1) | instskip(SKIP_3) | instid1(VALU_DEP_2)
	s_add_u32 s2, s2, s4
	v_lshlrev_b64 v[1:2], 1, v[1:2]
	s_addc_u32 s3, s3, s5
	v_mad_u64_u32 v[5:6], null, v0, s11, v[3:4]
	v_add_co_u32 v0, vcc_lo, s2, v1
	s_delay_alu instid0(VALU_DEP_3)
	v_add_co_ci_u32_e32 v1, vcc_lo, s3, v2, vcc_lo
	s_mul_hi_u32 s2, s15, s0
	s_mul_i32 s0, s15, s0
	s_add_i32 s1, s2, s1
	global_load_u16 v3, v[0:1], off
	s_lshl_b64 s[0:1], s[0:1], 1
	v_lshlrev_b64 v[0:1], 1, v[4:5]
	s_add_u32 s2, s6, s0
	s_addc_u32 s3, s7, s1
	s_lshl_b64 s[0:1], s[8:9], 1
	s_delay_alu instid0(SALU_CYCLE_1)
	s_add_u32 s0, s0, s2
	s_addc_u32 s1, s1, s3
	v_add_co_u32 v0, vcc_lo, s0, v0
	v_add_co_ci_u32_e32 v1, vcc_lo, s1, v1, vcc_lo
	s_lshl_b32 s0, s10, 16
	global_load_u16 v2, v[0:1], off
	s_waitcnt vmcnt(1)
	v_lshlrev_b32_e32 v3, 16, v3
	s_delay_alu instid0(VALU_DEP_1) | instskip(NEXT) | instid1(VALU_DEP_1)
	v_mul_f32_e32 v3, s0, v3
	v_and_b32_e32 v4, 0x7f800000, v3
	s_delay_alu instid0(VALU_DEP_1) | instskip(SKIP_1) | instid1(SALU_CYCLE_1)
	v_cmp_ne_u32_e32 vcc_lo, 0x7f800000, v4
                                        ; implicit-def: $vgpr4
	s_and_saveexec_b32 s0, vcc_lo
	s_xor_b32 s0, exec_lo, s0
; %bb.2:
	v_bfe_u32 v4, v3, 16, 1
	s_delay_alu instid0(VALU_DEP_1)
	v_add3_u32 v4, v3, v4, 0x7fff
                                        ; implicit-def: $vgpr3
; %bb.3:
	s_and_not1_saveexec_b32 s0, s0
; %bb.4:
	v_and_b32_e32 v4, 0xffff, v3
	v_or_b32_e32 v5, 0x10000, v3
	s_delay_alu instid0(VALU_DEP_2) | instskip(NEXT) | instid1(VALU_DEP_2)
	v_cmp_eq_u32_e32 vcc_lo, 0, v4
	v_cndmask_b32_e32 v4, v5, v3, vcc_lo
; %bb.5:
	s_or_b32 exec_lo, exec_lo, s0
	s_delay_alu instid0(VALU_DEP_1) | instskip(SKIP_2) | instid1(VALU_DEP_1)
	v_and_b32_e32 v3, 0xffff0000, v4
	s_waitcnt vmcnt(0)
	v_lshlrev_b32_e32 v2, 16, v2
	v_add_f32_e32 v2, v2, v3
	s_delay_alu instid0(VALU_DEP_1) | instskip(NEXT) | instid1(VALU_DEP_1)
	v_and_b32_e32 v3, 0x7f800000, v2
	v_cmp_ne_u32_e32 vcc_lo, 0x7f800000, v3
                                        ; implicit-def: $vgpr3
	s_and_saveexec_b32 s0, vcc_lo
	s_delay_alu instid0(SALU_CYCLE_1)
	s_xor_b32 s0, exec_lo, s0
; %bb.6:
	v_bfe_u32 v3, v2, 16, 1
	s_delay_alu instid0(VALU_DEP_1)
	v_add3_u32 v3, v2, v3, 0x7fff
                                        ; implicit-def: $vgpr2
; %bb.7:
	s_and_not1_saveexec_b32 s0, s0
; %bb.8:
	v_and_b32_e32 v3, 0xffff, v2
	v_or_b32_e32 v4, 0x10000, v2
	s_delay_alu instid0(VALU_DEP_2) | instskip(NEXT) | instid1(VALU_DEP_2)
	v_cmp_eq_u32_e32 vcc_lo, 0, v3
	v_cndmask_b32_e32 v3, v4, v2, vcc_lo
; %bb.9:
	s_or_b32 exec_lo, exec_lo, s0
	global_store_d16_hi_b16 v[0:1], v3, off
.LBB131_10:
	s_nop 0
	s_sendmsg sendmsg(MSG_DEALLOC_VGPRS)
	s_endpgm
	.section	.rodata,"a",@progbits
	.p2align	6, 0x0
	.amdhsa_kernel _ZL19rocblas_axpy_kernelIlLi256Ef16rocblas_bfloat16PKS0_PS0_EviT2_lT3_lT_lT4_lS6_li
		.amdhsa_group_segment_fixed_size 0
		.amdhsa_private_segment_fixed_size 0
		.amdhsa_kernarg_size 84
		.amdhsa_user_sgpr_count 14
		.amdhsa_user_sgpr_dispatch_ptr 0
		.amdhsa_user_sgpr_queue_ptr 0
		.amdhsa_user_sgpr_kernarg_segment_ptr 1
		.amdhsa_user_sgpr_dispatch_id 0
		.amdhsa_user_sgpr_private_segment_size 0
		.amdhsa_wavefront_size32 1
		.amdhsa_uses_dynamic_stack 0
		.amdhsa_enable_private_segment 0
		.amdhsa_system_sgpr_workgroup_id_x 1
		.amdhsa_system_sgpr_workgroup_id_y 0
		.amdhsa_system_sgpr_workgroup_id_z 1
		.amdhsa_system_sgpr_workgroup_info 0
		.amdhsa_system_vgpr_workitem_id 0
		.amdhsa_next_free_vgpr 7
		.amdhsa_next_free_sgpr 20
		.amdhsa_reserve_vcc 1
		.amdhsa_float_round_mode_32 0
		.amdhsa_float_round_mode_16_64 0
		.amdhsa_float_denorm_mode_32 3
		.amdhsa_float_denorm_mode_16_64 3
		.amdhsa_dx10_clamp 1
		.amdhsa_ieee_mode 1
		.amdhsa_fp16_overflow 0
		.amdhsa_workgroup_processor_mode 1
		.amdhsa_memory_ordered 1
		.amdhsa_forward_progress 0
		.amdhsa_shared_vgpr_count 0
		.amdhsa_exception_fp_ieee_invalid_op 0
		.amdhsa_exception_fp_denorm_src 0
		.amdhsa_exception_fp_ieee_div_zero 0
		.amdhsa_exception_fp_ieee_overflow 0
		.amdhsa_exception_fp_ieee_underflow 0
		.amdhsa_exception_fp_ieee_inexact 0
		.amdhsa_exception_int_div_zero 0
	.end_amdhsa_kernel
	.section	.text._ZL19rocblas_axpy_kernelIlLi256Ef16rocblas_bfloat16PKS0_PS0_EviT2_lT3_lT_lT4_lS6_li,"axG",@progbits,_ZL19rocblas_axpy_kernelIlLi256Ef16rocblas_bfloat16PKS0_PS0_EviT2_lT3_lT_lT4_lS6_li,comdat
.Lfunc_end131:
	.size	_ZL19rocblas_axpy_kernelIlLi256Ef16rocblas_bfloat16PKS0_PS0_EviT2_lT3_lT_lT4_lS6_li, .Lfunc_end131-_ZL19rocblas_axpy_kernelIlLi256Ef16rocblas_bfloat16PKS0_PS0_EviT2_lT3_lT_lT4_lS6_li
                                        ; -- End function
	.section	.AMDGPU.csdata,"",@progbits
; Kernel info:
; codeLenInByte = 564
; NumSgprs: 22
; NumVgprs: 7
; ScratchSize: 0
; MemoryBound: 0
; FloatMode: 240
; IeeeMode: 1
; LDSByteSize: 0 bytes/workgroup (compile time only)
; SGPRBlocks: 2
; VGPRBlocks: 0
; NumSGPRsForWavesPerEU: 22
; NumVGPRsForWavesPerEU: 7
; Occupancy: 16
; WaveLimiterHint : 0
; COMPUTE_PGM_RSRC2:SCRATCH_EN: 0
; COMPUTE_PGM_RSRC2:USER_SGPR: 14
; COMPUTE_PGM_RSRC2:TRAP_HANDLER: 0
; COMPUTE_PGM_RSRC2:TGID_X_EN: 1
; COMPUTE_PGM_RSRC2:TGID_Y_EN: 0
; COMPUTE_PGM_RSRC2:TGID_Z_EN: 1
; COMPUTE_PGM_RSRC2:TIDIG_COMP_CNT: 0
	.section	.text._ZL26rocblas_haxpy_mod_8_kernelILi256EPKfPK16rocblas_bfloat16PS2_EviT0_lT1_llT2_lli,"axG",@progbits,_ZL26rocblas_haxpy_mod_8_kernelILi256EPKfPK16rocblas_bfloat16PS2_EviT0_lT1_llT2_lli,comdat
	.globl	_ZL26rocblas_haxpy_mod_8_kernelILi256EPKfPK16rocblas_bfloat16PS2_EviT0_lT1_llT2_lli ; -- Begin function _ZL26rocblas_haxpy_mod_8_kernelILi256EPKfPK16rocblas_bfloat16PS2_EviT0_lT1_llT2_lli
	.p2align	8
	.type	_ZL26rocblas_haxpy_mod_8_kernelILi256EPKfPK16rocblas_bfloat16PS2_EviT0_lT1_llT2_lli,@function
_ZL26rocblas_haxpy_mod_8_kernelILi256EPKfPK16rocblas_bfloat16PS2_EviT0_lT1_llT2_lli: ; @_ZL26rocblas_haxpy_mod_8_kernelILi256EPKfPK16rocblas_bfloat16PS2_EviT0_lT1_llT2_lli
; %bb.0:
	s_clause 0x1
	s_load_b512 s[16:31], s[0:1], 0x8
	s_load_b32 s2, s[0:1], 0x0
	v_lshl_or_b32 v0, s14, 8, v0
	v_mov_b32_e32 v1, 0
	s_waitcnt lgkmcnt(0)
	s_mul_i32 s0, s15, s19
	s_mul_hi_u32 s1, s15, s18
	s_ashr_i32 s3, s2, 31
	s_add_i32 s1, s1, s0
	s_mul_i32 s0, s15, s18
	v_cmp_gt_i64_e32 vcc_lo, s[2:3], v[0:1]
	s_lshl_b64 s[0:1], s[0:1], 2
	s_delay_alu instid0(SALU_CYCLE_1) | instskip(SKIP_4) | instid1(VALU_DEP_1)
	s_add_u32 s0, s16, s0
	s_addc_u32 s1, s17, s1
	s_load_b32 s0, s[0:1], 0x0
	s_waitcnt lgkmcnt(0)
	v_cmp_neq_f32_e64 s1, s0, 0
	s_and_b32 s1, vcc_lo, s1
	s_delay_alu instid0(SALU_CYCLE_1)
	s_and_saveexec_b32 s2, s1
	s_cbranch_execz .LBB132_10
; %bb.1:
	s_mul_i32 s1, s15, s25
	s_mul_hi_u32 s3, s15, s24
	s_mul_i32 s2, s15, s24
	s_add_i32 s3, s3, s1
	v_lshlrev_b64 v[0:1], 1, v[0:1]
	s_lshl_b64 s[2:3], s[2:3], 1
	s_delay_alu instid0(SALU_CYCLE_1) | instskip(SKIP_2) | instid1(SALU_CYCLE_1)
	s_add_u32 s1, s20, s2
	s_addc_u32 s4, s21, s3
	s_lshl_b64 s[2:3], s[22:23], 1
	s_add_u32 s1, s2, s1
	s_addc_u32 s2, s3, s4
	v_add_co_u32 v2, vcc_lo, s1, v0
	v_add_co_ci_u32_e32 v3, vcc_lo, s2, v1, vcc_lo
	global_load_u16 v2, v[2:3], off
	s_waitcnt vmcnt(0)
	v_lshlrev_b32_e32 v2, 16, v2
	s_delay_alu instid0(VALU_DEP_1) | instskip(NEXT) | instid1(VALU_DEP_1)
	v_mul_f32_e32 v3, s0, v2
	v_and_b32_e32 v2, 0x7f800000, v3
	s_delay_alu instid0(VALU_DEP_1) | instskip(SKIP_1) | instid1(SALU_CYCLE_1)
	v_cmp_ne_u32_e32 vcc_lo, 0x7f800000, v2
                                        ; implicit-def: $vgpr2
	s_and_saveexec_b32 s0, vcc_lo
	s_xor_b32 s0, exec_lo, s0
; %bb.2:
	v_bfe_u32 v2, v3, 16, 1
	s_delay_alu instid0(VALU_DEP_1)
	v_add3_u32 v2, v3, v2, 0x7fff
                                        ; implicit-def: $vgpr3
; %bb.3:
	s_and_not1_saveexec_b32 s0, s0
; %bb.4:
	v_and_b32_e32 v2, 0xffff, v3
	v_or_b32_e32 v4, 0x10000, v3
	s_delay_alu instid0(VALU_DEP_2) | instskip(NEXT) | instid1(VALU_DEP_2)
	v_cmp_eq_u32_e32 vcc_lo, 0, v2
	v_cndmask_b32_e32 v2, v4, v3, vcc_lo
; %bb.5:
	s_or_b32 exec_lo, exec_lo, s0
	s_mul_i32 s1, s15, s31
	s_mul_hi_u32 s2, s15, s30
	s_mul_i32 s0, s15, s30
	s_add_i32 s1, s2, s1
	v_and_b32_e32 v2, 0xffff0000, v2
	s_lshl_b64 s[0:1], s[0:1], 1
	s_delay_alu instid0(SALU_CYCLE_1) | instskip(SKIP_2) | instid1(SALU_CYCLE_1)
	s_add_u32 s2, s26, s0
	s_addc_u32 s3, s27, s1
	s_lshl_b64 s[0:1], s[28:29], 1
	s_add_u32 s0, s0, s2
	s_addc_u32 s1, s1, s3
	v_add_co_u32 v0, vcc_lo, s0, v0
	v_add_co_ci_u32_e32 v1, vcc_lo, s1, v1, vcc_lo
	global_load_u16 v3, v[0:1], off
	s_waitcnt vmcnt(0)
	v_lshlrev_b32_e32 v3, 16, v3
	s_delay_alu instid0(VALU_DEP_1) | instskip(NEXT) | instid1(VALU_DEP_1)
	v_add_f32_e32 v2, v2, v3
	v_and_b32_e32 v3, 0x7f800000, v2
	s_delay_alu instid0(VALU_DEP_1) | instskip(SKIP_1) | instid1(SALU_CYCLE_1)
	v_cmp_ne_u32_e32 vcc_lo, 0x7f800000, v3
                                        ; implicit-def: $vgpr3
	s_and_saveexec_b32 s0, vcc_lo
	s_xor_b32 s0, exec_lo, s0
; %bb.6:
	v_bfe_u32 v3, v2, 16, 1
	s_delay_alu instid0(VALU_DEP_1)
	v_add3_u32 v3, v2, v3, 0x7fff
                                        ; implicit-def: $vgpr2
; %bb.7:
	s_and_not1_saveexec_b32 s0, s0
; %bb.8:
	v_and_b32_e32 v3, 0xffff, v2
	v_or_b32_e32 v4, 0x10000, v2
	s_delay_alu instid0(VALU_DEP_2) | instskip(NEXT) | instid1(VALU_DEP_2)
	v_cmp_eq_u32_e32 vcc_lo, 0, v3
	v_cndmask_b32_e32 v3, v4, v2, vcc_lo
; %bb.9:
	s_or_b32 exec_lo, exec_lo, s0
	global_store_d16_hi_b16 v[0:1], v3, off
.LBB132_10:
	s_nop 0
	s_sendmsg sendmsg(MSG_DEALLOC_VGPRS)
	s_endpgm
	.section	.rodata,"a",@progbits
	.p2align	6, 0x0
	.amdhsa_kernel _ZL26rocblas_haxpy_mod_8_kernelILi256EPKfPK16rocblas_bfloat16PS2_EviT0_lT1_llT2_lli
		.amdhsa_group_segment_fixed_size 0
		.amdhsa_private_segment_fixed_size 0
		.amdhsa_kernarg_size 76
		.amdhsa_user_sgpr_count 14
		.amdhsa_user_sgpr_dispatch_ptr 0
		.amdhsa_user_sgpr_queue_ptr 0
		.amdhsa_user_sgpr_kernarg_segment_ptr 1
		.amdhsa_user_sgpr_dispatch_id 0
		.amdhsa_user_sgpr_private_segment_size 0
		.amdhsa_wavefront_size32 1
		.amdhsa_uses_dynamic_stack 0
		.amdhsa_enable_private_segment 0
		.amdhsa_system_sgpr_workgroup_id_x 1
		.amdhsa_system_sgpr_workgroup_id_y 0
		.amdhsa_system_sgpr_workgroup_id_z 1
		.amdhsa_system_sgpr_workgroup_info 0
		.amdhsa_system_vgpr_workitem_id 0
		.amdhsa_next_free_vgpr 5
		.amdhsa_next_free_sgpr 32
		.amdhsa_reserve_vcc 1
		.amdhsa_float_round_mode_32 0
		.amdhsa_float_round_mode_16_64 0
		.amdhsa_float_denorm_mode_32 3
		.amdhsa_float_denorm_mode_16_64 3
		.amdhsa_dx10_clamp 1
		.amdhsa_ieee_mode 1
		.amdhsa_fp16_overflow 0
		.amdhsa_workgroup_processor_mode 1
		.amdhsa_memory_ordered 1
		.amdhsa_forward_progress 0
		.amdhsa_shared_vgpr_count 0
		.amdhsa_exception_fp_ieee_invalid_op 0
		.amdhsa_exception_fp_denorm_src 0
		.amdhsa_exception_fp_ieee_div_zero 0
		.amdhsa_exception_fp_ieee_overflow 0
		.amdhsa_exception_fp_ieee_underflow 0
		.amdhsa_exception_fp_ieee_inexact 0
		.amdhsa_exception_int_div_zero 0
	.end_amdhsa_kernel
	.section	.text._ZL26rocblas_haxpy_mod_8_kernelILi256EPKfPK16rocblas_bfloat16PS2_EviT0_lT1_llT2_lli,"axG",@progbits,_ZL26rocblas_haxpy_mod_8_kernelILi256EPKfPK16rocblas_bfloat16PS2_EviT0_lT1_llT2_lli,comdat
.Lfunc_end132:
	.size	_ZL26rocblas_haxpy_mod_8_kernelILi256EPKfPK16rocblas_bfloat16PS2_EviT0_lT1_llT2_lli, .Lfunc_end132-_ZL26rocblas_haxpy_mod_8_kernelILi256EPKfPK16rocblas_bfloat16PS2_EviT0_lT1_llT2_lli
                                        ; -- End function
	.section	.AMDGPU.csdata,"",@progbits
; Kernel info:
; codeLenInByte = 484
; NumSgprs: 34
; NumVgprs: 5
; ScratchSize: 0
; MemoryBound: 0
; FloatMode: 240
; IeeeMode: 1
; LDSByteSize: 0 bytes/workgroup (compile time only)
; SGPRBlocks: 4
; VGPRBlocks: 0
; NumSGPRsForWavesPerEU: 34
; NumVGPRsForWavesPerEU: 5
; Occupancy: 16
; WaveLimiterHint : 0
; COMPUTE_PGM_RSRC2:SCRATCH_EN: 0
; COMPUTE_PGM_RSRC2:USER_SGPR: 14
; COMPUTE_PGM_RSRC2:TRAP_HANDLER: 0
; COMPUTE_PGM_RSRC2:TGID_X_EN: 1
; COMPUTE_PGM_RSRC2:TGID_Y_EN: 0
; COMPUTE_PGM_RSRC2:TGID_Z_EN: 1
; COMPUTE_PGM_RSRC2:TIDIG_COMP_CNT: 0
	.section	.text._ZL26rocblas_haxpy_mod_8_kernelILi256EfPK16rocblas_bfloat16PS0_EviT0_lT1_llT2_lli,"axG",@progbits,_ZL26rocblas_haxpy_mod_8_kernelILi256EfPK16rocblas_bfloat16PS0_EviT0_lT1_llT2_lli,comdat
	.globl	_ZL26rocblas_haxpy_mod_8_kernelILi256EfPK16rocblas_bfloat16PS0_EviT0_lT1_llT2_lli ; -- Begin function _ZL26rocblas_haxpy_mod_8_kernelILi256EfPK16rocblas_bfloat16PS0_EviT0_lT1_llT2_lli
	.p2align	8
	.type	_ZL26rocblas_haxpy_mod_8_kernelILi256EfPK16rocblas_bfloat16PS0_EviT0_lT1_llT2_lli,@function
_ZL26rocblas_haxpy_mod_8_kernelILi256EfPK16rocblas_bfloat16PS0_EviT0_lT1_llT2_lli: ; @_ZL26rocblas_haxpy_mod_8_kernelILi256EfPK16rocblas_bfloat16PS0_EviT0_lT1_llT2_lli
; %bb.0:
	s_load_b64 s[12:13], s[0:1], 0x0
	v_mov_b32_e32 v1, 0
	v_lshl_or_b32 v0, s14, 8, v0
	s_waitcnt lgkmcnt(0)
	s_ashr_i32 s3, s12, 31
	s_mov_b32 s2, s12
	s_delay_alu instid0(VALU_DEP_1) | instid1(SALU_CYCLE_1)
	v_cmp_gt_i64_e32 vcc_lo, s[2:3], v[0:1]
	v_cmp_neq_f32_e64 s2, s13, 0
	s_delay_alu instid0(VALU_DEP_1) | instskip(NEXT) | instid1(SALU_CYCLE_1)
	s_and_b32 s2, s2, vcc_lo
	s_and_saveexec_b32 s3, s2
	s_cbranch_execz .LBB133_10
; %bb.1:
	s_load_b256 s[4:11], s[0:1], 0x10
	v_lshlrev_b64 v[0:1], 1, v[0:1]
	s_waitcnt lgkmcnt(0)
	s_mul_i32 s3, s15, s9
	s_mul_hi_u32 s9, s15, s8
	s_mul_i32 s2, s15, s8
	s_add_i32 s3, s9, s3
	s_delay_alu instid0(SALU_CYCLE_1) | instskip(NEXT) | instid1(SALU_CYCLE_1)
	s_lshl_b64 s[2:3], s[2:3], 1
	s_add_u32 s4, s4, s2
	s_addc_u32 s5, s5, s3
	s_lshl_b64 s[2:3], s[6:7], 1
	s_delay_alu instid0(SALU_CYCLE_1)
	s_add_u32 s2, s2, s4
	s_addc_u32 s3, s3, s5
	v_add_co_u32 v2, vcc_lo, s2, v0
	v_add_co_ci_u32_e32 v3, vcc_lo, s3, v1, vcc_lo
	s_load_b128 s[0:3], s[0:1], 0x30
	global_load_u16 v2, v[2:3], off
	s_waitcnt vmcnt(0)
	v_lshlrev_b32_e32 v2, 16, v2
	s_delay_alu instid0(VALU_DEP_1) | instskip(NEXT) | instid1(VALU_DEP_1)
	v_mul_f32_e32 v3, s13, v2
	v_and_b32_e32 v2, 0x7f800000, v3
	s_delay_alu instid0(VALU_DEP_1) | instskip(SKIP_1) | instid1(SALU_CYCLE_1)
	v_cmp_ne_u32_e32 vcc_lo, 0x7f800000, v2
                                        ; implicit-def: $vgpr2
	s_and_saveexec_b32 s4, vcc_lo
	s_xor_b32 s4, exec_lo, s4
; %bb.2:
	v_bfe_u32 v2, v3, 16, 1
	s_delay_alu instid0(VALU_DEP_1)
	v_add3_u32 v2, v3, v2, 0x7fff
                                        ; implicit-def: $vgpr3
; %bb.3:
	s_and_not1_saveexec_b32 s4, s4
; %bb.4:
	v_and_b32_e32 v2, 0xffff, v3
	v_or_b32_e32 v4, 0x10000, v3
	s_delay_alu instid0(VALU_DEP_2) | instskip(NEXT) | instid1(VALU_DEP_2)
	v_cmp_eq_u32_e32 vcc_lo, 0, v2
	v_cndmask_b32_e32 v2, v4, v3, vcc_lo
; %bb.5:
	s_or_b32 exec_lo, exec_lo, s4
	s_waitcnt lgkmcnt(0)
	s_mul_i32 s3, s15, s3
	s_mul_hi_u32 s4, s15, s2
	s_mul_i32 s2, s15, s2
	s_add_i32 s3, s4, s3
	v_and_b32_e32 v2, 0xffff0000, v2
	s_lshl_b64 s[2:3], s[2:3], 1
	s_delay_alu instid0(SALU_CYCLE_1) | instskip(SKIP_2) | instid1(SALU_CYCLE_1)
	s_add_u32 s2, s10, s2
	s_addc_u32 s3, s11, s3
	s_lshl_b64 s[0:1], s[0:1], 1
	s_add_u32 s0, s0, s2
	s_addc_u32 s1, s1, s3
	v_add_co_u32 v0, vcc_lo, s0, v0
	v_add_co_ci_u32_e32 v1, vcc_lo, s1, v1, vcc_lo
	global_load_u16 v3, v[0:1], off
	s_waitcnt vmcnt(0)
	v_lshlrev_b32_e32 v3, 16, v3
	s_delay_alu instid0(VALU_DEP_1) | instskip(NEXT) | instid1(VALU_DEP_1)
	v_add_f32_e32 v2, v2, v3
	v_and_b32_e32 v3, 0x7f800000, v2
	s_delay_alu instid0(VALU_DEP_1) | instskip(SKIP_1) | instid1(SALU_CYCLE_1)
	v_cmp_ne_u32_e32 vcc_lo, 0x7f800000, v3
                                        ; implicit-def: $vgpr3
	s_and_saveexec_b32 s0, vcc_lo
	s_xor_b32 s0, exec_lo, s0
; %bb.6:
	v_bfe_u32 v3, v2, 16, 1
	s_delay_alu instid0(VALU_DEP_1)
	v_add3_u32 v3, v2, v3, 0x7fff
                                        ; implicit-def: $vgpr2
; %bb.7:
	s_and_not1_saveexec_b32 s0, s0
; %bb.8:
	v_and_b32_e32 v3, 0xffff, v2
	v_or_b32_e32 v4, 0x10000, v2
	s_delay_alu instid0(VALU_DEP_2) | instskip(NEXT) | instid1(VALU_DEP_2)
	v_cmp_eq_u32_e32 vcc_lo, 0, v3
	v_cndmask_b32_e32 v3, v4, v2, vcc_lo
; %bb.9:
	s_or_b32 exec_lo, exec_lo, s0
	global_store_d16_hi_b16 v[0:1], v3, off
.LBB133_10:
	s_nop 0
	s_sendmsg sendmsg(MSG_DEALLOC_VGPRS)
	s_endpgm
	.section	.rodata,"a",@progbits
	.p2align	6, 0x0
	.amdhsa_kernel _ZL26rocblas_haxpy_mod_8_kernelILi256EfPK16rocblas_bfloat16PS0_EviT0_lT1_llT2_lli
		.amdhsa_group_segment_fixed_size 0
		.amdhsa_private_segment_fixed_size 0
		.amdhsa_kernarg_size 68
		.amdhsa_user_sgpr_count 14
		.amdhsa_user_sgpr_dispatch_ptr 0
		.amdhsa_user_sgpr_queue_ptr 0
		.amdhsa_user_sgpr_kernarg_segment_ptr 1
		.amdhsa_user_sgpr_dispatch_id 0
		.amdhsa_user_sgpr_private_segment_size 0
		.amdhsa_wavefront_size32 1
		.amdhsa_uses_dynamic_stack 0
		.amdhsa_enable_private_segment 0
		.amdhsa_system_sgpr_workgroup_id_x 1
		.amdhsa_system_sgpr_workgroup_id_y 0
		.amdhsa_system_sgpr_workgroup_id_z 1
		.amdhsa_system_sgpr_workgroup_info 0
		.amdhsa_system_vgpr_workitem_id 0
		.amdhsa_next_free_vgpr 5
		.amdhsa_next_free_sgpr 16
		.amdhsa_reserve_vcc 1
		.amdhsa_float_round_mode_32 0
		.amdhsa_float_round_mode_16_64 0
		.amdhsa_float_denorm_mode_32 3
		.amdhsa_float_denorm_mode_16_64 3
		.amdhsa_dx10_clamp 1
		.amdhsa_ieee_mode 1
		.amdhsa_fp16_overflow 0
		.amdhsa_workgroup_processor_mode 1
		.amdhsa_memory_ordered 1
		.amdhsa_forward_progress 0
		.amdhsa_shared_vgpr_count 0
		.amdhsa_exception_fp_ieee_invalid_op 0
		.amdhsa_exception_fp_denorm_src 0
		.amdhsa_exception_fp_ieee_div_zero 0
		.amdhsa_exception_fp_ieee_overflow 0
		.amdhsa_exception_fp_ieee_underflow 0
		.amdhsa_exception_fp_ieee_inexact 0
		.amdhsa_exception_int_div_zero 0
	.end_amdhsa_kernel
	.section	.text._ZL26rocblas_haxpy_mod_8_kernelILi256EfPK16rocblas_bfloat16PS0_EviT0_lT1_llT2_lli,"axG",@progbits,_ZL26rocblas_haxpy_mod_8_kernelILi256EfPK16rocblas_bfloat16PS0_EviT0_lT1_llT2_lli,comdat
.Lfunc_end133:
	.size	_ZL26rocblas_haxpy_mod_8_kernelILi256EfPK16rocblas_bfloat16PS0_EviT0_lT1_llT2_lli, .Lfunc_end133-_ZL26rocblas_haxpy_mod_8_kernelILi256EfPK16rocblas_bfloat16PS0_EviT0_lT1_llT2_lli
                                        ; -- End function
	.section	.AMDGPU.csdata,"",@progbits
; Kernel info:
; codeLenInByte = 464
; NumSgprs: 18
; NumVgprs: 5
; ScratchSize: 0
; MemoryBound: 0
; FloatMode: 240
; IeeeMode: 1
; LDSByteSize: 0 bytes/workgroup (compile time only)
; SGPRBlocks: 2
; VGPRBlocks: 0
; NumSGPRsForWavesPerEU: 18
; NumVGPRsForWavesPerEU: 5
; Occupancy: 16
; WaveLimiterHint : 0
; COMPUTE_PGM_RSRC2:SCRATCH_EN: 0
; COMPUTE_PGM_RSRC2:USER_SGPR: 14
; COMPUTE_PGM_RSRC2:TRAP_HANDLER: 0
; COMPUTE_PGM_RSRC2:TGID_X_EN: 1
; COMPUTE_PGM_RSRC2:TGID_Y_EN: 0
; COMPUTE_PGM_RSRC2:TGID_Z_EN: 1
; COMPUTE_PGM_RSRC2:TIDIG_COMP_CNT: 0
	.section	.text._ZL22rocblas_saxpy_2_kernelILi256EfPKfPK16rocblas_bfloat16PS2_EviT1_lT2_llT3_lli,"axG",@progbits,_ZL22rocblas_saxpy_2_kernelILi256EfPKfPK16rocblas_bfloat16PS2_EviT1_lT2_llT3_lli,comdat
	.globl	_ZL22rocblas_saxpy_2_kernelILi256EfPKfPK16rocblas_bfloat16PS2_EviT1_lT2_llT3_lli ; -- Begin function _ZL22rocblas_saxpy_2_kernelILi256EfPKfPK16rocblas_bfloat16PS2_EviT1_lT2_llT3_lli
	.p2align	8
	.type	_ZL22rocblas_saxpy_2_kernelILi256EfPKfPK16rocblas_bfloat16PS2_EviT1_lT2_llT3_lli,@function
_ZL22rocblas_saxpy_2_kernelILi256EfPKfPK16rocblas_bfloat16PS2_EviT1_lT2_llT3_lli: ; @_ZL22rocblas_saxpy_2_kernelILi256EfPKfPK16rocblas_bfloat16PS2_EviT1_lT2_llT3_lli
; %bb.0:
	s_load_b128 s[4:7], s[0:1], 0x8
	s_waitcnt lgkmcnt(0)
	s_mul_i32 s2, s15, s7
	s_mul_hi_u32 s3, s15, s6
	s_delay_alu instid0(SALU_CYCLE_1) | instskip(SKIP_1) | instid1(SALU_CYCLE_1)
	s_add_i32 s3, s3, s2
	s_mul_i32 s2, s15, s6
	s_lshl_b64 s[2:3], s[2:3], 2
	s_delay_alu instid0(SALU_CYCLE_1) | instskip(SKIP_4) | instid1(VALU_DEP_1)
	s_add_u32 s2, s4, s2
	s_addc_u32 s3, s5, s3
	s_load_b32 s2, s[2:3], 0x0
	s_waitcnt lgkmcnt(0)
	v_cmp_eq_f32_e64 s3, s2, 0
	s_and_b32 vcc_lo, exec_lo, s3
	s_cbranch_vccnz .LBB134_29
; %bb.1:
	s_clause 0x4
	s_load_b128 s[4:7], s[0:1], 0x20
	s_load_b128 s[8:11], s[0:1], 0x38
	s_load_b64 s[12:13], s[0:1], 0x18
	s_load_b64 s[16:17], s[0:1], 0x30
	s_load_b32 s3, s[0:1], 0x0
	v_dual_mov_b32 v3, 0 :: v_dual_lshlrev_b32 v0, 1, v0
	s_delay_alu instid0(VALU_DEP_1) | instskip(NEXT) | instid1(VALU_DEP_1)
	v_lshl_or_b32 v2, s14, 9, v0
	v_lshlrev_b64 v[0:1], 1, v[2:3]
	s_waitcnt lgkmcnt(0)
	s_mul_i32 s1, s15, s7
	s_mul_hi_u32 s7, s15, s6
	s_mul_i32 s0, s15, s6
	s_add_i32 s1, s7, s1
	s_mul_i32 s7, s15, s11
	s_lshl_b64 s[0:1], s[0:1], 1
	s_mul_hi_u32 s11, s15, s10
	s_add_u32 s12, s12, s0
	s_addc_u32 s13, s13, s1
	s_lshl_b64 s[0:1], s[4:5], 1
	s_mul_i32 s6, s15, s10
	s_add_u32 s4, s12, s0
	s_addc_u32 s5, s13, s1
	s_add_i32 s7, s11, s7
	s_delay_alu instid0(SALU_CYCLE_1) | instskip(NEXT) | instid1(SALU_CYCLE_1)
	s_lshl_b64 s[0:1], s[6:7], 1
	s_add_u32 s6, s16, s0
	s_addc_u32 s7, s17, s1
	s_lshl_b64 s[0:1], s[8:9], 1
	s_mov_b32 s8, exec_lo
	s_add_u32 s6, s6, s0
	s_addc_u32 s7, s7, s1
	s_add_i32 s0, s3, -1
	s_delay_alu instid0(SALU_CYCLE_1) | instskip(NEXT) | instid1(SALU_CYCLE_1)
	s_ashr_i32 s1, s0, 31
	v_cmpx_gt_i64_e64 s[0:1], v[2:3]
	s_cbranch_execz .LBB134_19
; %bb.2:
	v_add_co_u32 v6, vcc_lo, s4, v0
	v_add_co_ci_u32_e32 v7, vcc_lo, s5, v1, vcc_lo
	v_add_co_u32 v4, vcc_lo, s6, v0
	v_add_co_ci_u32_e32 v5, vcc_lo, s7, v1, vcc_lo
	global_load_u16 v9, v[6:7], off
	global_load_u16 v8, v[4:5], off
	s_waitcnt vmcnt(1)
	v_lshlrev_b32_e32 v9, 16, v9
	s_delay_alu instid0(VALU_DEP_1) | instskip(NEXT) | instid1(VALU_DEP_1)
	v_mul_f32_e32 v9, s2, v9
	v_and_b32_e32 v10, 0x7f800000, v9
	s_delay_alu instid0(VALU_DEP_1) | instskip(SKIP_1) | instid1(SALU_CYCLE_1)
	v_cmp_ne_u32_e32 vcc_lo, 0x7f800000, v10
                                        ; implicit-def: $vgpr10
	s_and_saveexec_b32 s9, vcc_lo
	s_xor_b32 s9, exec_lo, s9
; %bb.3:
	v_bfe_u32 v10, v9, 16, 1
	s_delay_alu instid0(VALU_DEP_1)
	v_add3_u32 v10, v9, v10, 0x7fff
                                        ; implicit-def: $vgpr9
; %bb.4:
	s_and_not1_saveexec_b32 s9, s9
; %bb.5:
	v_and_b32_e32 v10, 0xffff, v9
	v_or_b32_e32 v11, 0x10000, v9
	s_delay_alu instid0(VALU_DEP_2) | instskip(NEXT) | instid1(VALU_DEP_2)
	v_cmp_eq_u32_e32 vcc_lo, 0, v10
	v_cndmask_b32_e32 v10, v11, v9, vcc_lo
; %bb.6:
	s_or_b32 exec_lo, exec_lo, s9
	s_delay_alu instid0(VALU_DEP_1) | instskip(SKIP_2) | instid1(VALU_DEP_1)
	v_and_b32_e32 v9, 0xffff0000, v10
	s_waitcnt vmcnt(0)
	v_lshlrev_b32_e32 v8, 16, v8
	v_add_f32_e32 v9, v8, v9
	s_delay_alu instid0(VALU_DEP_1) | instskip(NEXT) | instid1(VALU_DEP_1)
	v_and_b32_e32 v8, 0x7f800000, v9
	v_cmp_ne_u32_e32 vcc_lo, 0x7f800000, v8
                                        ; implicit-def: $vgpr8
	s_and_saveexec_b32 s9, vcc_lo
	s_delay_alu instid0(SALU_CYCLE_1)
	s_xor_b32 s9, exec_lo, s9
; %bb.7:
	v_bfe_u32 v8, v9, 16, 1
	s_delay_alu instid0(VALU_DEP_1)
	v_add3_u32 v8, v9, v8, 0x7fff
                                        ; implicit-def: $vgpr9
; %bb.8:
	s_and_not1_saveexec_b32 s9, s9
; %bb.9:
	v_and_b32_e32 v8, 0xffff, v9
	v_or_b32_e32 v10, 0x10000, v9
	s_delay_alu instid0(VALU_DEP_2) | instskip(NEXT) | instid1(VALU_DEP_2)
	v_cmp_eq_u32_e32 vcc_lo, 0, v8
	v_cndmask_b32_e32 v8, v10, v9, vcc_lo
; %bb.10:
	s_or_b32 exec_lo, exec_lo, s9
	global_load_u16 v7, v[6:7], off offset:2
	global_load_u16 v6, v[4:5], off offset:2
	s_mov_b32 s9, exec_lo
	global_store_d16_hi_b16 v[4:5], v8, off
                                        ; implicit-def: $vgpr8
	s_waitcnt vmcnt(1)
	v_lshlrev_b32_e32 v7, 16, v7
	s_delay_alu instid0(VALU_DEP_1) | instskip(NEXT) | instid1(VALU_DEP_1)
	v_mul_f32_e32 v7, s2, v7
	v_and_b32_e32 v9, 0x7f800000, v7
	s_delay_alu instid0(VALU_DEP_1)
	v_cmpx_ne_u32_e32 0x7f800000, v9
	s_xor_b32 s9, exec_lo, s9
; %bb.11:
	v_bfe_u32 v8, v7, 16, 1
	s_delay_alu instid0(VALU_DEP_1)
	v_add3_u32 v8, v7, v8, 0x7fff
                                        ; implicit-def: $vgpr7
; %bb.12:
	s_and_not1_saveexec_b32 s9, s9
; %bb.13:
	v_and_b32_e32 v8, 0xffff, v7
	v_or_b32_e32 v9, 0x10000, v7
	s_delay_alu instid0(VALU_DEP_2) | instskip(NEXT) | instid1(VALU_DEP_2)
	v_cmp_eq_u32_e32 vcc_lo, 0, v8
	v_cndmask_b32_e32 v8, v9, v7, vcc_lo
; %bb.14:
	s_or_b32 exec_lo, exec_lo, s9
	s_delay_alu instid0(VALU_DEP_1) | instskip(SKIP_2) | instid1(VALU_DEP_1)
	v_and_b32_e32 v7, 0xffff0000, v8
	s_waitcnt vmcnt(0)
	v_lshlrev_b32_e32 v6, 16, v6
	v_add_f32_e32 v6, v6, v7
	s_delay_alu instid0(VALU_DEP_1) | instskip(NEXT) | instid1(VALU_DEP_1)
	v_and_b32_e32 v7, 0x7f800000, v6
	v_cmp_ne_u32_e32 vcc_lo, 0x7f800000, v7
                                        ; implicit-def: $vgpr7
	s_and_saveexec_b32 s9, vcc_lo
	s_delay_alu instid0(SALU_CYCLE_1)
	s_xor_b32 s9, exec_lo, s9
; %bb.15:
	v_bfe_u32 v7, v6, 16, 1
	s_delay_alu instid0(VALU_DEP_1)
	v_add3_u32 v7, v6, v7, 0x7fff
                                        ; implicit-def: $vgpr6
; %bb.16:
	s_and_not1_saveexec_b32 s9, s9
; %bb.17:
	v_and_b32_e32 v7, 0xffff, v6
	v_or_b32_e32 v8, 0x10000, v6
	s_delay_alu instid0(VALU_DEP_2) | instskip(NEXT) | instid1(VALU_DEP_2)
	v_cmp_eq_u32_e32 vcc_lo, 0, v7
	v_cndmask_b32_e32 v7, v8, v6, vcc_lo
; %bb.18:
	s_or_b32 exec_lo, exec_lo, s9
	global_store_d16_hi_b16 v[4:5], v7, off offset:2
.LBB134_19:
	s_or_b32 exec_lo, exec_lo, s8
	v_cmp_eq_u64_e32 vcc_lo, s[0:1], v[2:3]
	s_bitcmp1_b32 s3, 0
	s_cselect_b32 s0, -1, 0
	s_delay_alu instid0(SALU_CYCLE_1) | instskip(NEXT) | instid1(SALU_CYCLE_1)
	s_and_b32 s0, s0, vcc_lo
	s_and_saveexec_b32 s1, s0
	s_cbranch_execz .LBB134_29
; %bb.20:
	v_add_co_u32 v2, vcc_lo, s4, v0
	v_add_co_ci_u32_e32 v3, vcc_lo, s5, v1, vcc_lo
	v_add_co_u32 v0, vcc_lo, s6, v0
	v_add_co_ci_u32_e32 v1, vcc_lo, s7, v1, vcc_lo
	global_load_u16 v3, v[2:3], off
	global_load_u16 v2, v[0:1], off
	s_waitcnt vmcnt(1)
	v_lshlrev_b32_e32 v3, 16, v3
	s_delay_alu instid0(VALU_DEP_1) | instskip(NEXT) | instid1(VALU_DEP_1)
	v_mul_f32_e32 v3, s2, v3
	v_and_b32_e32 v4, 0x7f800000, v3
	s_delay_alu instid0(VALU_DEP_1) | instskip(SKIP_1) | instid1(SALU_CYCLE_1)
	v_cmp_ne_u32_e32 vcc_lo, 0x7f800000, v4
                                        ; implicit-def: $vgpr4
	s_and_saveexec_b32 s0, vcc_lo
	s_xor_b32 s0, exec_lo, s0
; %bb.21:
	v_bfe_u32 v4, v3, 16, 1
	s_delay_alu instid0(VALU_DEP_1)
	v_add3_u32 v4, v3, v4, 0x7fff
                                        ; implicit-def: $vgpr3
; %bb.22:
	s_and_not1_saveexec_b32 s0, s0
; %bb.23:
	v_and_b32_e32 v4, 0xffff, v3
	v_or_b32_e32 v5, 0x10000, v3
	s_delay_alu instid0(VALU_DEP_2) | instskip(NEXT) | instid1(VALU_DEP_2)
	v_cmp_eq_u32_e32 vcc_lo, 0, v4
	v_cndmask_b32_e32 v4, v5, v3, vcc_lo
; %bb.24:
	s_or_b32 exec_lo, exec_lo, s0
	s_delay_alu instid0(VALU_DEP_1) | instskip(SKIP_2) | instid1(VALU_DEP_1)
	v_and_b32_e32 v3, 0xffff0000, v4
	s_waitcnt vmcnt(0)
	v_lshlrev_b32_e32 v2, 16, v2
	v_add_f32_e32 v2, v2, v3
	s_delay_alu instid0(VALU_DEP_1) | instskip(NEXT) | instid1(VALU_DEP_1)
	v_and_b32_e32 v3, 0x7f800000, v2
	v_cmp_ne_u32_e32 vcc_lo, 0x7f800000, v3
                                        ; implicit-def: $vgpr3
	s_and_saveexec_b32 s0, vcc_lo
	s_delay_alu instid0(SALU_CYCLE_1)
	s_xor_b32 s0, exec_lo, s0
; %bb.25:
	v_bfe_u32 v3, v2, 16, 1
	s_delay_alu instid0(VALU_DEP_1)
	v_add3_u32 v3, v2, v3, 0x7fff
                                        ; implicit-def: $vgpr2
; %bb.26:
	s_and_not1_saveexec_b32 s0, s0
; %bb.27:
	v_and_b32_e32 v3, 0xffff, v2
	v_or_b32_e32 v4, 0x10000, v2
	s_delay_alu instid0(VALU_DEP_2) | instskip(NEXT) | instid1(VALU_DEP_2)
	v_cmp_eq_u32_e32 vcc_lo, 0, v3
	v_cndmask_b32_e32 v3, v4, v2, vcc_lo
; %bb.28:
	s_or_b32 exec_lo, exec_lo, s0
	global_store_d16_hi_b16 v[0:1], v3, off
.LBB134_29:
	s_nop 0
	s_sendmsg sendmsg(MSG_DEALLOC_VGPRS)
	s_endpgm
	.section	.rodata,"a",@progbits
	.p2align	6, 0x0
	.amdhsa_kernel _ZL22rocblas_saxpy_2_kernelILi256EfPKfPK16rocblas_bfloat16PS2_EviT1_lT2_llT3_lli
		.amdhsa_group_segment_fixed_size 0
		.amdhsa_private_segment_fixed_size 0
		.amdhsa_kernarg_size 76
		.amdhsa_user_sgpr_count 14
		.amdhsa_user_sgpr_dispatch_ptr 0
		.amdhsa_user_sgpr_queue_ptr 0
		.amdhsa_user_sgpr_kernarg_segment_ptr 1
		.amdhsa_user_sgpr_dispatch_id 0
		.amdhsa_user_sgpr_private_segment_size 0
		.amdhsa_wavefront_size32 1
		.amdhsa_uses_dynamic_stack 0
		.amdhsa_enable_private_segment 0
		.amdhsa_system_sgpr_workgroup_id_x 1
		.amdhsa_system_sgpr_workgroup_id_y 0
		.amdhsa_system_sgpr_workgroup_id_z 1
		.amdhsa_system_sgpr_workgroup_info 0
		.amdhsa_system_vgpr_workitem_id 0
		.amdhsa_next_free_vgpr 12
		.amdhsa_next_free_sgpr 18
		.amdhsa_reserve_vcc 1
		.amdhsa_float_round_mode_32 0
		.amdhsa_float_round_mode_16_64 0
		.amdhsa_float_denorm_mode_32 3
		.amdhsa_float_denorm_mode_16_64 3
		.amdhsa_dx10_clamp 1
		.amdhsa_ieee_mode 1
		.amdhsa_fp16_overflow 0
		.amdhsa_workgroup_processor_mode 1
		.amdhsa_memory_ordered 1
		.amdhsa_forward_progress 0
		.amdhsa_shared_vgpr_count 0
		.amdhsa_exception_fp_ieee_invalid_op 0
		.amdhsa_exception_fp_denorm_src 0
		.amdhsa_exception_fp_ieee_div_zero 0
		.amdhsa_exception_fp_ieee_overflow 0
		.amdhsa_exception_fp_ieee_underflow 0
		.amdhsa_exception_fp_ieee_inexact 0
		.amdhsa_exception_int_div_zero 0
	.end_amdhsa_kernel
	.section	.text._ZL22rocblas_saxpy_2_kernelILi256EfPKfPK16rocblas_bfloat16PS2_EviT1_lT2_llT3_lli,"axG",@progbits,_ZL22rocblas_saxpy_2_kernelILi256EfPKfPK16rocblas_bfloat16PS2_EviT1_lT2_llT3_lli,comdat
.Lfunc_end134:
	.size	_ZL22rocblas_saxpy_2_kernelILi256EfPKfPK16rocblas_bfloat16PS2_EviT1_lT2_llT3_lli, .Lfunc_end134-_ZL22rocblas_saxpy_2_kernelILi256EfPKfPK16rocblas_bfloat16PS2_EviT1_lT2_llT3_lli
                                        ; -- End function
	.section	.AMDGPU.csdata,"",@progbits
; Kernel info:
; codeLenInByte = 1088
; NumSgprs: 20
; NumVgprs: 12
; ScratchSize: 0
; MemoryBound: 0
; FloatMode: 240
; IeeeMode: 1
; LDSByteSize: 0 bytes/workgroup (compile time only)
; SGPRBlocks: 2
; VGPRBlocks: 1
; NumSGPRsForWavesPerEU: 20
; NumVGPRsForWavesPerEU: 12
; Occupancy: 16
; WaveLimiterHint : 0
; COMPUTE_PGM_RSRC2:SCRATCH_EN: 0
; COMPUTE_PGM_RSRC2:USER_SGPR: 14
; COMPUTE_PGM_RSRC2:TRAP_HANDLER: 0
; COMPUTE_PGM_RSRC2:TGID_X_EN: 1
; COMPUTE_PGM_RSRC2:TGID_Y_EN: 0
; COMPUTE_PGM_RSRC2:TGID_Z_EN: 1
; COMPUTE_PGM_RSRC2:TIDIG_COMP_CNT: 0
	.section	.text._ZL22rocblas_saxpy_2_kernelILi256EffPK16rocblas_bfloat16PS0_EviT1_lT2_llT3_lli,"axG",@progbits,_ZL22rocblas_saxpy_2_kernelILi256EffPK16rocblas_bfloat16PS0_EviT1_lT2_llT3_lli,comdat
	.globl	_ZL22rocblas_saxpy_2_kernelILi256EffPK16rocblas_bfloat16PS0_EviT1_lT2_llT3_lli ; -- Begin function _ZL22rocblas_saxpy_2_kernelILi256EffPK16rocblas_bfloat16PS0_EviT1_lT2_llT3_lli
	.p2align	8
	.type	_ZL22rocblas_saxpy_2_kernelILi256EffPK16rocblas_bfloat16PS0_EviT1_lT2_llT3_lli,@function
_ZL22rocblas_saxpy_2_kernelILi256EffPK16rocblas_bfloat16PS0_EviT1_lT2_llT3_lli: ; @_ZL22rocblas_saxpy_2_kernelILi256EffPK16rocblas_bfloat16PS0_EviT1_lT2_llT3_lli
; %bb.0:
	s_load_b64 s[2:3], s[0:1], 0x0
	s_waitcnt lgkmcnt(0)
	v_cmp_eq_f32_e64 s4, s3, 0
	s_delay_alu instid0(VALU_DEP_1)
	s_and_b32 vcc_lo, exec_lo, s4
	s_cbranch_vccnz .LBB135_29
; %bb.1:
	s_clause 0x3
	s_load_b128 s[4:7], s[0:1], 0x18
	s_load_b128 s[8:11], s[0:1], 0x30
	s_load_b64 s[12:13], s[0:1], 0x10
	s_load_b64 s[0:1], s[0:1], 0x28
	v_dual_mov_b32 v3, 0 :: v_dual_lshlrev_b32 v0, 1, v0
	s_delay_alu instid0(VALU_DEP_1) | instskip(NEXT) | instid1(VALU_DEP_1)
	v_lshl_or_b32 v2, s14, 9, v0
	v_lshlrev_b64 v[0:1], 1, v[2:3]
	s_waitcnt lgkmcnt(0)
	s_mul_i32 s7, s15, s7
	s_mul_hi_u32 s16, s15, s6
	s_mul_i32 s6, s15, s6
	s_add_i32 s7, s16, s7
	s_mul_i32 s11, s15, s11
	s_lshl_b64 s[6:7], s[6:7], 1
	s_mul_hi_u32 s16, s15, s10
	s_add_u32 s12, s12, s6
	s_addc_u32 s7, s13, s7
	s_lshl_b64 s[4:5], s[4:5], 1
	s_mul_i32 s6, s15, s10
	s_add_u32 s4, s12, s4
	s_addc_u32 s5, s7, s5
	s_add_i32 s7, s16, s11
	s_delay_alu instid0(SALU_CYCLE_1) | instskip(NEXT) | instid1(SALU_CYCLE_1)
	s_lshl_b64 s[6:7], s[6:7], 1
	s_add_u32 s6, s0, s6
	s_addc_u32 s7, s1, s7
	s_lshl_b64 s[0:1], s[8:9], 1
	s_mov_b32 s8, exec_lo
	s_add_u32 s6, s6, s0
	s_addc_u32 s7, s7, s1
	s_add_i32 s0, s2, -1
	s_delay_alu instid0(SALU_CYCLE_1) | instskip(NEXT) | instid1(SALU_CYCLE_1)
	s_ashr_i32 s1, s0, 31
	v_cmpx_gt_i64_e64 s[0:1], v[2:3]
	s_cbranch_execz .LBB135_19
; %bb.2:
	v_add_co_u32 v6, vcc_lo, s4, v0
	v_add_co_ci_u32_e32 v7, vcc_lo, s5, v1, vcc_lo
	v_add_co_u32 v4, vcc_lo, s6, v0
	v_add_co_ci_u32_e32 v5, vcc_lo, s7, v1, vcc_lo
	global_load_u16 v9, v[6:7], off
	global_load_u16 v8, v[4:5], off
	s_waitcnt vmcnt(1)
	v_lshlrev_b32_e32 v9, 16, v9
	s_delay_alu instid0(VALU_DEP_1) | instskip(NEXT) | instid1(VALU_DEP_1)
	v_mul_f32_e32 v9, s3, v9
	v_and_b32_e32 v10, 0x7f800000, v9
	s_delay_alu instid0(VALU_DEP_1) | instskip(SKIP_1) | instid1(SALU_CYCLE_1)
	v_cmp_ne_u32_e32 vcc_lo, 0x7f800000, v10
                                        ; implicit-def: $vgpr10
	s_and_saveexec_b32 s9, vcc_lo
	s_xor_b32 s9, exec_lo, s9
; %bb.3:
	v_bfe_u32 v10, v9, 16, 1
	s_delay_alu instid0(VALU_DEP_1)
	v_add3_u32 v10, v9, v10, 0x7fff
                                        ; implicit-def: $vgpr9
; %bb.4:
	s_and_not1_saveexec_b32 s9, s9
; %bb.5:
	v_and_b32_e32 v10, 0xffff, v9
	v_or_b32_e32 v11, 0x10000, v9
	s_delay_alu instid0(VALU_DEP_2) | instskip(NEXT) | instid1(VALU_DEP_2)
	v_cmp_eq_u32_e32 vcc_lo, 0, v10
	v_cndmask_b32_e32 v10, v11, v9, vcc_lo
; %bb.6:
	s_or_b32 exec_lo, exec_lo, s9
	s_delay_alu instid0(VALU_DEP_1) | instskip(SKIP_2) | instid1(VALU_DEP_1)
	v_and_b32_e32 v9, 0xffff0000, v10
	s_waitcnt vmcnt(0)
	v_lshlrev_b32_e32 v8, 16, v8
	v_add_f32_e32 v9, v8, v9
	s_delay_alu instid0(VALU_DEP_1) | instskip(NEXT) | instid1(VALU_DEP_1)
	v_and_b32_e32 v8, 0x7f800000, v9
	v_cmp_ne_u32_e32 vcc_lo, 0x7f800000, v8
                                        ; implicit-def: $vgpr8
	s_and_saveexec_b32 s9, vcc_lo
	s_delay_alu instid0(SALU_CYCLE_1)
	s_xor_b32 s9, exec_lo, s9
; %bb.7:
	v_bfe_u32 v8, v9, 16, 1
	s_delay_alu instid0(VALU_DEP_1)
	v_add3_u32 v8, v9, v8, 0x7fff
                                        ; implicit-def: $vgpr9
; %bb.8:
	s_and_not1_saveexec_b32 s9, s9
; %bb.9:
	v_and_b32_e32 v8, 0xffff, v9
	v_or_b32_e32 v10, 0x10000, v9
	s_delay_alu instid0(VALU_DEP_2) | instskip(NEXT) | instid1(VALU_DEP_2)
	v_cmp_eq_u32_e32 vcc_lo, 0, v8
	v_cndmask_b32_e32 v8, v10, v9, vcc_lo
; %bb.10:
	s_or_b32 exec_lo, exec_lo, s9
	global_load_u16 v7, v[6:7], off offset:2
	global_load_u16 v6, v[4:5], off offset:2
	s_mov_b32 s9, exec_lo
	global_store_d16_hi_b16 v[4:5], v8, off
                                        ; implicit-def: $vgpr8
	s_waitcnt vmcnt(1)
	v_lshlrev_b32_e32 v7, 16, v7
	s_delay_alu instid0(VALU_DEP_1) | instskip(NEXT) | instid1(VALU_DEP_1)
	v_mul_f32_e32 v7, s3, v7
	v_and_b32_e32 v9, 0x7f800000, v7
	s_delay_alu instid0(VALU_DEP_1)
	v_cmpx_ne_u32_e32 0x7f800000, v9
	s_xor_b32 s9, exec_lo, s9
; %bb.11:
	v_bfe_u32 v8, v7, 16, 1
	s_delay_alu instid0(VALU_DEP_1)
	v_add3_u32 v8, v7, v8, 0x7fff
                                        ; implicit-def: $vgpr7
; %bb.12:
	s_and_not1_saveexec_b32 s9, s9
; %bb.13:
	v_and_b32_e32 v8, 0xffff, v7
	v_or_b32_e32 v9, 0x10000, v7
	s_delay_alu instid0(VALU_DEP_2) | instskip(NEXT) | instid1(VALU_DEP_2)
	v_cmp_eq_u32_e32 vcc_lo, 0, v8
	v_cndmask_b32_e32 v8, v9, v7, vcc_lo
; %bb.14:
	s_or_b32 exec_lo, exec_lo, s9
	s_delay_alu instid0(VALU_DEP_1) | instskip(SKIP_2) | instid1(VALU_DEP_1)
	v_and_b32_e32 v7, 0xffff0000, v8
	s_waitcnt vmcnt(0)
	v_lshlrev_b32_e32 v6, 16, v6
	v_add_f32_e32 v6, v6, v7
	s_delay_alu instid0(VALU_DEP_1) | instskip(NEXT) | instid1(VALU_DEP_1)
	v_and_b32_e32 v7, 0x7f800000, v6
	v_cmp_ne_u32_e32 vcc_lo, 0x7f800000, v7
                                        ; implicit-def: $vgpr7
	s_and_saveexec_b32 s9, vcc_lo
	s_delay_alu instid0(SALU_CYCLE_1)
	s_xor_b32 s9, exec_lo, s9
; %bb.15:
	v_bfe_u32 v7, v6, 16, 1
	s_delay_alu instid0(VALU_DEP_1)
	v_add3_u32 v7, v6, v7, 0x7fff
                                        ; implicit-def: $vgpr6
; %bb.16:
	s_and_not1_saveexec_b32 s9, s9
; %bb.17:
	v_and_b32_e32 v7, 0xffff, v6
	v_or_b32_e32 v8, 0x10000, v6
	s_delay_alu instid0(VALU_DEP_2) | instskip(NEXT) | instid1(VALU_DEP_2)
	v_cmp_eq_u32_e32 vcc_lo, 0, v7
	v_cndmask_b32_e32 v7, v8, v6, vcc_lo
; %bb.18:
	s_or_b32 exec_lo, exec_lo, s9
	global_store_d16_hi_b16 v[4:5], v7, off offset:2
.LBB135_19:
	s_or_b32 exec_lo, exec_lo, s8
	v_cmp_eq_u64_e32 vcc_lo, s[0:1], v[2:3]
	s_bitcmp1_b32 s2, 0
	s_cselect_b32 s0, -1, 0
	s_delay_alu instid0(SALU_CYCLE_1) | instskip(NEXT) | instid1(SALU_CYCLE_1)
	s_and_b32 s0, s0, vcc_lo
	s_and_saveexec_b32 s1, s0
	s_cbranch_execz .LBB135_29
; %bb.20:
	v_add_co_u32 v2, vcc_lo, s4, v0
	v_add_co_ci_u32_e32 v3, vcc_lo, s5, v1, vcc_lo
	v_add_co_u32 v0, vcc_lo, s6, v0
	v_add_co_ci_u32_e32 v1, vcc_lo, s7, v1, vcc_lo
	global_load_u16 v3, v[2:3], off
	global_load_u16 v2, v[0:1], off
	s_waitcnt vmcnt(1)
	v_lshlrev_b32_e32 v3, 16, v3
	s_delay_alu instid0(VALU_DEP_1) | instskip(NEXT) | instid1(VALU_DEP_1)
	v_mul_f32_e32 v3, s3, v3
	v_and_b32_e32 v4, 0x7f800000, v3
	s_delay_alu instid0(VALU_DEP_1) | instskip(SKIP_1) | instid1(SALU_CYCLE_1)
	v_cmp_ne_u32_e32 vcc_lo, 0x7f800000, v4
                                        ; implicit-def: $vgpr4
	s_and_saveexec_b32 s0, vcc_lo
	s_xor_b32 s0, exec_lo, s0
; %bb.21:
	v_bfe_u32 v4, v3, 16, 1
	s_delay_alu instid0(VALU_DEP_1)
	v_add3_u32 v4, v3, v4, 0x7fff
                                        ; implicit-def: $vgpr3
; %bb.22:
	s_and_not1_saveexec_b32 s0, s0
; %bb.23:
	v_and_b32_e32 v4, 0xffff, v3
	v_or_b32_e32 v5, 0x10000, v3
	s_delay_alu instid0(VALU_DEP_2) | instskip(NEXT) | instid1(VALU_DEP_2)
	v_cmp_eq_u32_e32 vcc_lo, 0, v4
	v_cndmask_b32_e32 v4, v5, v3, vcc_lo
; %bb.24:
	s_or_b32 exec_lo, exec_lo, s0
	s_delay_alu instid0(VALU_DEP_1) | instskip(SKIP_2) | instid1(VALU_DEP_1)
	v_and_b32_e32 v3, 0xffff0000, v4
	s_waitcnt vmcnt(0)
	v_lshlrev_b32_e32 v2, 16, v2
	v_add_f32_e32 v2, v2, v3
	s_delay_alu instid0(VALU_DEP_1) | instskip(NEXT) | instid1(VALU_DEP_1)
	v_and_b32_e32 v3, 0x7f800000, v2
	v_cmp_ne_u32_e32 vcc_lo, 0x7f800000, v3
                                        ; implicit-def: $vgpr3
	s_and_saveexec_b32 s0, vcc_lo
	s_delay_alu instid0(SALU_CYCLE_1)
	s_xor_b32 s0, exec_lo, s0
; %bb.25:
	v_bfe_u32 v3, v2, 16, 1
	s_delay_alu instid0(VALU_DEP_1)
	v_add3_u32 v3, v2, v3, 0x7fff
                                        ; implicit-def: $vgpr2
; %bb.26:
	s_and_not1_saveexec_b32 s0, s0
; %bb.27:
	v_and_b32_e32 v3, 0xffff, v2
	v_or_b32_e32 v4, 0x10000, v2
	s_delay_alu instid0(VALU_DEP_2) | instskip(NEXT) | instid1(VALU_DEP_2)
	v_cmp_eq_u32_e32 vcc_lo, 0, v3
	v_cndmask_b32_e32 v3, v4, v2, vcc_lo
; %bb.28:
	s_or_b32 exec_lo, exec_lo, s0
	global_store_d16_hi_b16 v[0:1], v3, off
.LBB135_29:
	s_nop 0
	s_sendmsg sendmsg(MSG_DEALLOC_VGPRS)
	s_endpgm
	.section	.rodata,"a",@progbits
	.p2align	6, 0x0
	.amdhsa_kernel _ZL22rocblas_saxpy_2_kernelILi256EffPK16rocblas_bfloat16PS0_EviT1_lT2_llT3_lli
		.amdhsa_group_segment_fixed_size 0
		.amdhsa_private_segment_fixed_size 0
		.amdhsa_kernarg_size 68
		.amdhsa_user_sgpr_count 14
		.amdhsa_user_sgpr_dispatch_ptr 0
		.amdhsa_user_sgpr_queue_ptr 0
		.amdhsa_user_sgpr_kernarg_segment_ptr 1
		.amdhsa_user_sgpr_dispatch_id 0
		.amdhsa_user_sgpr_private_segment_size 0
		.amdhsa_wavefront_size32 1
		.amdhsa_uses_dynamic_stack 0
		.amdhsa_enable_private_segment 0
		.amdhsa_system_sgpr_workgroup_id_x 1
		.amdhsa_system_sgpr_workgroup_id_y 0
		.amdhsa_system_sgpr_workgroup_id_z 1
		.amdhsa_system_sgpr_workgroup_info 0
		.amdhsa_system_vgpr_workitem_id 0
		.amdhsa_next_free_vgpr 12
		.amdhsa_next_free_sgpr 17
		.amdhsa_reserve_vcc 1
		.amdhsa_float_round_mode_32 0
		.amdhsa_float_round_mode_16_64 0
		.amdhsa_float_denorm_mode_32 3
		.amdhsa_float_denorm_mode_16_64 3
		.amdhsa_dx10_clamp 1
		.amdhsa_ieee_mode 1
		.amdhsa_fp16_overflow 0
		.amdhsa_workgroup_processor_mode 1
		.amdhsa_memory_ordered 1
		.amdhsa_forward_progress 0
		.amdhsa_shared_vgpr_count 0
		.amdhsa_exception_fp_ieee_invalid_op 0
		.amdhsa_exception_fp_denorm_src 0
		.amdhsa_exception_fp_ieee_div_zero 0
		.amdhsa_exception_fp_ieee_overflow 0
		.amdhsa_exception_fp_ieee_underflow 0
		.amdhsa_exception_fp_ieee_inexact 0
		.amdhsa_exception_int_div_zero 0
	.end_amdhsa_kernel
	.section	.text._ZL22rocblas_saxpy_2_kernelILi256EffPK16rocblas_bfloat16PS0_EviT1_lT2_llT3_lli,"axG",@progbits,_ZL22rocblas_saxpy_2_kernelILi256EffPK16rocblas_bfloat16PS0_EviT1_lT2_llT3_lli,comdat
.Lfunc_end135:
	.size	_ZL22rocblas_saxpy_2_kernelILi256EffPK16rocblas_bfloat16PS0_EviT1_lT2_llT3_lli, .Lfunc_end135-_ZL22rocblas_saxpy_2_kernelILi256EffPK16rocblas_bfloat16PS0_EviT1_lT2_llT3_lli
                                        ; -- End function
	.section	.AMDGPU.csdata,"",@progbits
; Kernel info:
; codeLenInByte = 1036
; NumSgprs: 19
; NumVgprs: 12
; ScratchSize: 0
; MemoryBound: 0
; FloatMode: 240
; IeeeMode: 1
; LDSByteSize: 0 bytes/workgroup (compile time only)
; SGPRBlocks: 2
; VGPRBlocks: 1
; NumSGPRsForWavesPerEU: 19
; NumVGPRsForWavesPerEU: 12
; Occupancy: 16
; WaveLimiterHint : 0
; COMPUTE_PGM_RSRC2:SCRATCH_EN: 0
; COMPUTE_PGM_RSRC2:USER_SGPR: 14
; COMPUTE_PGM_RSRC2:TRAP_HANDLER: 0
; COMPUTE_PGM_RSRC2:TGID_X_EN: 1
; COMPUTE_PGM_RSRC2:TGID_Y_EN: 0
; COMPUTE_PGM_RSRC2:TGID_Z_EN: 1
; COMPUTE_PGM_RSRC2:TIDIG_COMP_CNT: 0
	.section	.text._ZL27rocblas_axpy_kernel_batchedIiLi128ELi8EfPKfPK16rocblas_bfloat16PS2_EviT3_lT4_lT_lT5_lS8_li,"axG",@progbits,_ZL27rocblas_axpy_kernel_batchedIiLi128ELi8EfPKfPK16rocblas_bfloat16PS2_EviT3_lT4_lT_lT5_lS8_li,comdat
	.globl	_ZL27rocblas_axpy_kernel_batchedIiLi128ELi8EfPKfPK16rocblas_bfloat16PS2_EviT3_lT4_lT_lT5_lS8_li ; -- Begin function _ZL27rocblas_axpy_kernel_batchedIiLi128ELi8EfPKfPK16rocblas_bfloat16PS2_EviT3_lT4_lT_lT5_lS8_li
	.p2align	8
	.type	_ZL27rocblas_axpy_kernel_batchedIiLi128ELi8EfPKfPK16rocblas_bfloat16PS2_EviT3_lT4_lT_lT5_lS8_li,@function
_ZL27rocblas_axpy_kernel_batchedIiLi128ELi8EfPKfPK16rocblas_bfloat16PS2_EviT3_lT4_lT_lT5_lS8_li: ; @_ZL27rocblas_axpy_kernel_batchedIiLi128ELi8EfPKfPK16rocblas_bfloat16PS2_EviT3_lT4_lT_lT5_lS8_li
; %bb.0:
	s_load_b32 s2, s[0:1], 0x0
	v_dual_mov_b32 v2, 0 :: v_dual_and_b32 v1, 0x3ff, v0
	s_delay_alu instid0(VALU_DEP_1)
	v_lshl_add_u32 v1, s14, 7, v1
	s_waitcnt lgkmcnt(0)
	s_ashr_i32 s3, s2, 31
	s_delay_alu instid0(VALU_DEP_1) | instid1(SALU_CYCLE_1)
	v_cmp_gt_i64_e32 vcc_lo, s[2:3], v[1:2]
	s_and_saveexec_b32 s2, vcc_lo
	s_cbranch_execz .LBB136_45
; %bb.1:
	s_clause 0x6
	s_load_b32 s13, s[0:1], 0x28
	s_load_b32 s14, s[0:1], 0x48
	s_load_b256 s[4:11], s[0:1], 0x8
	s_load_b128 s[16:19], s[0:1], 0x30
	s_load_b64 s[2:3], s[0:1], 0x50
	s_load_b32 s12, s[0:1], 0x58
	s_load_b64 s[0:1], s[0:1], 0x40
	v_bfe_u32 v0, v0, 10, 10
	s_waitcnt lgkmcnt(0)
	v_mad_u64_u32 v[2:3], null, s13, v1, 0
	v_mad_u64_u32 v[4:5], null, s14, v1, 0
	s_ashr_i32 s13, s13, 31
	s_lshl_b64 s[10:11], s[10:11], 1
	s_delay_alu instid0(VALU_DEP_1) | instskip(SKIP_4) | instid1(SALU_CYCLE_1)
	v_mad_u64_u32 v[6:7], null, s13, v1, v[3:4]
	s_ashr_i32 s13, s14, 31
	s_add_u32 s8, s10, s8
	s_addc_u32 s9, s11, s9
	s_lshl_b64 s[0:1], s[0:1], 1
	s_add_u32 s0, s0, s18
	s_delay_alu instid0(VALU_DEP_1) | instskip(SKIP_2) | instid1(VALU_DEP_1)
	v_mad_u64_u32 v[7:8], null, s13, v1, v[5:6]
	v_dual_mov_b32 v3, v6 :: v_dual_lshlrev_b32 v8, 2, v0
	s_addc_u32 s1, s1, s19
	v_lshl_add_u32 v6, s15, 5, v8
	s_delay_alu instid0(VALU_DEP_3) | instskip(NEXT) | instid1(VALU_DEP_3)
	v_mov_b32_e32 v5, v7
	v_lshlrev_b64 v[0:1], 1, v[2:3]
	s_delay_alu instid0(VALU_DEP_2) | instskip(NEXT) | instid1(VALU_DEP_2)
	v_lshlrev_b64 v[2:3], 1, v[4:5]
	v_add_co_u32 v4, vcc_lo, s8, v0
	s_delay_alu instid0(VALU_DEP_3) | instskip(NEXT) | instid1(VALU_DEP_3)
	v_add_co_ci_u32_e32 v5, vcc_lo, s9, v1, vcc_lo
	v_add_co_u32 v2, vcc_lo, s0, v2
	s_delay_alu instid0(VALU_DEP_4)
	v_add_co_ci_u32_e32 v3, vcc_lo, s1, v3, vcc_lo
	s_mov_b32 s0, exec_lo
	v_cmpx_gt_u32_e64 s12, v6
	s_cbranch_execz .LBB136_12
; %bb.2:
	v_mad_u64_u32 v[0:1], null, v6, s6, 0
	s_delay_alu instid0(VALU_DEP_1) | instskip(NEXT) | instid1(VALU_DEP_1)
	v_mad_u64_u32 v[7:8], null, v6, s7, v[1:2]
	v_mov_b32_e32 v1, v7
	s_delay_alu instid0(VALU_DEP_1) | instskip(NEXT) | instid1(VALU_DEP_1)
	v_lshlrev_b64 v[0:1], 2, v[0:1]
	v_add_co_u32 v0, vcc_lo, s4, v0
	s_delay_alu instid0(VALU_DEP_2)
	v_add_co_ci_u32_e32 v1, vcc_lo, s5, v1, vcc_lo
	global_load_b32 v7, v[0:1], off
	s_waitcnt vmcnt(0)
	v_cmp_neq_f32_e32 vcc_lo, 0, v7
	s_and_b32 exec_lo, exec_lo, vcc_lo
	s_cbranch_execz .LBB136_12
; %bb.3:
	v_mad_u64_u32 v[0:1], null, v6, s16, 0
	s_delay_alu instid0(VALU_DEP_1) | instskip(SKIP_1) | instid1(VALU_DEP_1)
	v_mad_u64_u32 v[8:9], null, v6, s17, v[1:2]
	v_mad_u64_u32 v[9:10], null, v6, s2, 0
	v_dual_mov_b32 v1, v8 :: v_dual_mov_b32 v8, v10
	s_delay_alu instid0(VALU_DEP_1) | instskip(NEXT) | instid1(VALU_DEP_2)
	v_lshlrev_b64 v[0:1], 1, v[0:1]
	v_mad_u64_u32 v[10:11], null, v6, s3, v[8:9]
	s_delay_alu instid0(VALU_DEP_2) | instskip(NEXT) | instid1(VALU_DEP_3)
	v_add_co_u32 v0, vcc_lo, v4, v0
	v_add_co_ci_u32_e32 v1, vcc_lo, v5, v1, vcc_lo
	global_load_u16 v11, v[0:1], off
	v_lshlrev_b64 v[0:1], 1, v[9:10]
	s_delay_alu instid0(VALU_DEP_1) | instskip(NEXT) | instid1(VALU_DEP_2)
	v_add_co_u32 v0, vcc_lo, v2, v0
	v_add_co_ci_u32_e32 v1, vcc_lo, v3, v1, vcc_lo
	global_load_u16 v8, v[0:1], off
	s_waitcnt vmcnt(1)
	v_lshlrev_b32_e32 v9, 16, v11
	s_delay_alu instid0(VALU_DEP_1) | instskip(NEXT) | instid1(VALU_DEP_1)
	v_mul_f32_e32 v7, v7, v9
	v_and_b32_e32 v9, 0x7f800000, v7
	s_delay_alu instid0(VALU_DEP_1) | instskip(SKIP_1) | instid1(SALU_CYCLE_1)
	v_cmp_ne_u32_e32 vcc_lo, 0x7f800000, v9
                                        ; implicit-def: $vgpr9
	s_and_saveexec_b32 s1, vcc_lo
	s_xor_b32 s1, exec_lo, s1
; %bb.4:
	v_bfe_u32 v9, v7, 16, 1
	s_delay_alu instid0(VALU_DEP_1)
	v_add3_u32 v9, v7, v9, 0x7fff
                                        ; implicit-def: $vgpr7
; %bb.5:
	s_and_not1_saveexec_b32 s1, s1
; %bb.6:
	v_and_b32_e32 v9, 0xffff, v7
	v_or_b32_e32 v10, 0x10000, v7
	s_delay_alu instid0(VALU_DEP_2) | instskip(NEXT) | instid1(VALU_DEP_2)
	v_cmp_eq_u32_e32 vcc_lo, 0, v9
	v_cndmask_b32_e32 v9, v10, v7, vcc_lo
; %bb.7:
	s_or_b32 exec_lo, exec_lo, s1
	s_delay_alu instid0(VALU_DEP_1) | instskip(SKIP_2) | instid1(VALU_DEP_1)
	v_and_b32_e32 v7, 0xffff0000, v9
	s_waitcnt vmcnt(0)
	v_lshlrev_b32_e32 v8, 16, v8
	v_add_f32_e32 v7, v8, v7
	s_delay_alu instid0(VALU_DEP_1) | instskip(NEXT) | instid1(VALU_DEP_1)
	v_and_b32_e32 v8, 0x7f800000, v7
	v_cmp_ne_u32_e32 vcc_lo, 0x7f800000, v8
                                        ; implicit-def: $vgpr8
	s_and_saveexec_b32 s1, vcc_lo
	s_delay_alu instid0(SALU_CYCLE_1)
	s_xor_b32 s1, exec_lo, s1
; %bb.8:
	v_bfe_u32 v8, v7, 16, 1
	s_delay_alu instid0(VALU_DEP_1)
	v_add3_u32 v8, v7, v8, 0x7fff
                                        ; implicit-def: $vgpr7
; %bb.9:
	s_and_not1_saveexec_b32 s1, s1
; %bb.10:
	v_and_b32_e32 v8, 0xffff, v7
	v_or_b32_e32 v9, 0x10000, v7
	s_delay_alu instid0(VALU_DEP_2) | instskip(NEXT) | instid1(VALU_DEP_2)
	v_cmp_eq_u32_e32 vcc_lo, 0, v8
	v_cndmask_b32_e32 v8, v9, v7, vcc_lo
; %bb.11:
	s_or_b32 exec_lo, exec_lo, s1
	global_store_d16_hi_b16 v[0:1], v8, off
.LBB136_12:
	s_or_b32 exec_lo, exec_lo, s0
	v_or_b32_e32 v0, 1, v6
	s_mov_b32 s0, exec_lo
	s_delay_alu instid0(VALU_DEP_1)
	v_cmpx_gt_u32_e64 s12, v0
	s_cbranch_execz .LBB136_23
; %bb.13:
	v_mad_u64_u32 v[7:8], null, v0, s6, 0
	s_delay_alu instid0(VALU_DEP_1) | instskip(NEXT) | instid1(VALU_DEP_1)
	v_mov_b32_e32 v1, v8
	v_mad_u64_u32 v[8:9], null, v0, s7, v[1:2]
	s_delay_alu instid0(VALU_DEP_1) | instskip(NEXT) | instid1(VALU_DEP_1)
	v_lshlrev_b64 v[7:8], 2, v[7:8]
	v_add_co_u32 v7, vcc_lo, s4, v7
	s_delay_alu instid0(VALU_DEP_2)
	v_add_co_ci_u32_e32 v8, vcc_lo, s5, v8, vcc_lo
	global_load_b32 v7, v[7:8], off
	s_waitcnt vmcnt(0)
	v_cmp_neq_f32_e32 vcc_lo, 0, v7
	s_and_b32 exec_lo, exec_lo, vcc_lo
	s_cbranch_execz .LBB136_23
; %bb.14:
	v_mad_u64_u32 v[8:9], null, v0, s16, 0
	s_delay_alu instid0(VALU_DEP_1) | instskip(NEXT) | instid1(VALU_DEP_1)
	v_mov_b32_e32 v1, v9
	v_mad_u64_u32 v[9:10], null, v0, s17, v[1:2]
	v_mad_u64_u32 v[10:11], null, v0, s2, 0
	s_delay_alu instid0(VALU_DEP_2) | instskip(NEXT) | instid1(VALU_DEP_2)
	v_lshlrev_b64 v[8:9], 1, v[8:9]
	v_mov_b32_e32 v1, v11
	s_delay_alu instid0(VALU_DEP_1) | instskip(NEXT) | instid1(VALU_DEP_3)
	v_mad_u64_u32 v[11:12], null, v0, s3, v[1:2]
	v_add_co_u32 v0, vcc_lo, v4, v8
	s_delay_alu instid0(VALU_DEP_4) | instskip(SKIP_2) | instid1(VALU_DEP_1)
	v_add_co_ci_u32_e32 v1, vcc_lo, v5, v9, vcc_lo
	global_load_u16 v9, v[0:1], off
	v_lshlrev_b64 v[0:1], 1, v[10:11]
	v_add_co_u32 v0, vcc_lo, v2, v0
	s_delay_alu instid0(VALU_DEP_2) | instskip(SKIP_3) | instid1(VALU_DEP_1)
	v_add_co_ci_u32_e32 v1, vcc_lo, v3, v1, vcc_lo
	global_load_u16 v8, v[0:1], off
	s_waitcnt vmcnt(1)
	v_lshlrev_b32_e32 v9, 16, v9
	v_mul_f32_e32 v7, v7, v9
	s_delay_alu instid0(VALU_DEP_1) | instskip(NEXT) | instid1(VALU_DEP_1)
	v_and_b32_e32 v9, 0x7f800000, v7
	v_cmp_ne_u32_e32 vcc_lo, 0x7f800000, v9
                                        ; implicit-def: $vgpr9
	s_and_saveexec_b32 s1, vcc_lo
	s_delay_alu instid0(SALU_CYCLE_1)
	s_xor_b32 s1, exec_lo, s1
; %bb.15:
	v_bfe_u32 v9, v7, 16, 1
	s_delay_alu instid0(VALU_DEP_1)
	v_add3_u32 v9, v7, v9, 0x7fff
                                        ; implicit-def: $vgpr7
; %bb.16:
	s_and_not1_saveexec_b32 s1, s1
; %bb.17:
	v_and_b32_e32 v9, 0xffff, v7
	v_or_b32_e32 v10, 0x10000, v7
	s_delay_alu instid0(VALU_DEP_2) | instskip(NEXT) | instid1(VALU_DEP_2)
	v_cmp_eq_u32_e32 vcc_lo, 0, v9
	v_cndmask_b32_e32 v9, v10, v7, vcc_lo
; %bb.18:
	s_or_b32 exec_lo, exec_lo, s1
	s_delay_alu instid0(VALU_DEP_1) | instskip(SKIP_2) | instid1(VALU_DEP_1)
	v_and_b32_e32 v7, 0xffff0000, v9
	s_waitcnt vmcnt(0)
	v_lshlrev_b32_e32 v8, 16, v8
	v_add_f32_e32 v7, v8, v7
	s_delay_alu instid0(VALU_DEP_1) | instskip(NEXT) | instid1(VALU_DEP_1)
	v_and_b32_e32 v8, 0x7f800000, v7
	v_cmp_ne_u32_e32 vcc_lo, 0x7f800000, v8
                                        ; implicit-def: $vgpr8
	s_and_saveexec_b32 s1, vcc_lo
	s_delay_alu instid0(SALU_CYCLE_1)
	s_xor_b32 s1, exec_lo, s1
; %bb.19:
	v_bfe_u32 v8, v7, 16, 1
	s_delay_alu instid0(VALU_DEP_1)
	v_add3_u32 v8, v7, v8, 0x7fff
                                        ; implicit-def: $vgpr7
; %bb.20:
	s_and_not1_saveexec_b32 s1, s1
; %bb.21:
	v_and_b32_e32 v8, 0xffff, v7
	v_or_b32_e32 v9, 0x10000, v7
	s_delay_alu instid0(VALU_DEP_2) | instskip(NEXT) | instid1(VALU_DEP_2)
	v_cmp_eq_u32_e32 vcc_lo, 0, v8
	v_cndmask_b32_e32 v8, v9, v7, vcc_lo
; %bb.22:
	s_or_b32 exec_lo, exec_lo, s1
	global_store_d16_hi_b16 v[0:1], v8, off
.LBB136_23:
	s_or_b32 exec_lo, exec_lo, s0
	v_or_b32_e32 v0, 2, v6
	s_mov_b32 s0, exec_lo
	s_delay_alu instid0(VALU_DEP_1)
	v_cmpx_gt_u32_e64 s12, v0
	s_cbranch_execz .LBB136_34
; %bb.24:
	v_mad_u64_u32 v[7:8], null, v0, s6, 0
	s_delay_alu instid0(VALU_DEP_1) | instskip(NEXT) | instid1(VALU_DEP_1)
	v_mov_b32_e32 v1, v8
	v_mad_u64_u32 v[8:9], null, v0, s7, v[1:2]
	s_delay_alu instid0(VALU_DEP_1) | instskip(NEXT) | instid1(VALU_DEP_1)
	v_lshlrev_b64 v[7:8], 2, v[7:8]
	v_add_co_u32 v7, vcc_lo, s4, v7
	s_delay_alu instid0(VALU_DEP_2)
	v_add_co_ci_u32_e32 v8, vcc_lo, s5, v8, vcc_lo
	global_load_b32 v7, v[7:8], off
	s_waitcnt vmcnt(0)
	v_cmp_neq_f32_e32 vcc_lo, 0, v7
	s_and_b32 exec_lo, exec_lo, vcc_lo
	s_cbranch_execz .LBB136_34
; %bb.25:
	v_mad_u64_u32 v[8:9], null, v0, s16, 0
	s_delay_alu instid0(VALU_DEP_1) | instskip(NEXT) | instid1(VALU_DEP_1)
	v_mov_b32_e32 v1, v9
	v_mad_u64_u32 v[9:10], null, v0, s17, v[1:2]
	v_mad_u64_u32 v[10:11], null, v0, s2, 0
	s_delay_alu instid0(VALU_DEP_2) | instskip(NEXT) | instid1(VALU_DEP_2)
	v_lshlrev_b64 v[8:9], 1, v[8:9]
	v_mov_b32_e32 v1, v11
	s_delay_alu instid0(VALU_DEP_1) | instskip(NEXT) | instid1(VALU_DEP_3)
	v_mad_u64_u32 v[11:12], null, v0, s3, v[1:2]
	v_add_co_u32 v0, vcc_lo, v4, v8
	s_delay_alu instid0(VALU_DEP_4) | instskip(SKIP_2) | instid1(VALU_DEP_1)
	v_add_co_ci_u32_e32 v1, vcc_lo, v5, v9, vcc_lo
	global_load_u16 v9, v[0:1], off
	v_lshlrev_b64 v[0:1], 1, v[10:11]
	v_add_co_u32 v0, vcc_lo, v2, v0
	s_delay_alu instid0(VALU_DEP_2) | instskip(SKIP_3) | instid1(VALU_DEP_1)
	v_add_co_ci_u32_e32 v1, vcc_lo, v3, v1, vcc_lo
	global_load_u16 v8, v[0:1], off
	s_waitcnt vmcnt(1)
	v_lshlrev_b32_e32 v9, 16, v9
	v_mul_f32_e32 v7, v7, v9
	s_delay_alu instid0(VALU_DEP_1) | instskip(NEXT) | instid1(VALU_DEP_1)
	v_and_b32_e32 v9, 0x7f800000, v7
	v_cmp_ne_u32_e32 vcc_lo, 0x7f800000, v9
                                        ; implicit-def: $vgpr9
	s_and_saveexec_b32 s1, vcc_lo
	s_delay_alu instid0(SALU_CYCLE_1)
	s_xor_b32 s1, exec_lo, s1
; %bb.26:
	v_bfe_u32 v9, v7, 16, 1
	s_delay_alu instid0(VALU_DEP_1)
	v_add3_u32 v9, v7, v9, 0x7fff
                                        ; implicit-def: $vgpr7
; %bb.27:
	s_and_not1_saveexec_b32 s1, s1
; %bb.28:
	v_and_b32_e32 v9, 0xffff, v7
	v_or_b32_e32 v10, 0x10000, v7
	s_delay_alu instid0(VALU_DEP_2) | instskip(NEXT) | instid1(VALU_DEP_2)
	v_cmp_eq_u32_e32 vcc_lo, 0, v9
	v_cndmask_b32_e32 v9, v10, v7, vcc_lo
; %bb.29:
	s_or_b32 exec_lo, exec_lo, s1
	s_delay_alu instid0(VALU_DEP_1) | instskip(SKIP_2) | instid1(VALU_DEP_1)
	v_and_b32_e32 v7, 0xffff0000, v9
	s_waitcnt vmcnt(0)
	v_lshlrev_b32_e32 v8, 16, v8
	v_add_f32_e32 v7, v8, v7
	s_delay_alu instid0(VALU_DEP_1) | instskip(NEXT) | instid1(VALU_DEP_1)
	v_and_b32_e32 v8, 0x7f800000, v7
	v_cmp_ne_u32_e32 vcc_lo, 0x7f800000, v8
                                        ; implicit-def: $vgpr8
	s_and_saveexec_b32 s1, vcc_lo
	s_delay_alu instid0(SALU_CYCLE_1)
	s_xor_b32 s1, exec_lo, s1
; %bb.30:
	v_bfe_u32 v8, v7, 16, 1
	s_delay_alu instid0(VALU_DEP_1)
	v_add3_u32 v8, v7, v8, 0x7fff
                                        ; implicit-def: $vgpr7
; %bb.31:
	s_and_not1_saveexec_b32 s1, s1
; %bb.32:
	v_and_b32_e32 v8, 0xffff, v7
	v_or_b32_e32 v9, 0x10000, v7
	s_delay_alu instid0(VALU_DEP_2) | instskip(NEXT) | instid1(VALU_DEP_2)
	v_cmp_eq_u32_e32 vcc_lo, 0, v8
	v_cndmask_b32_e32 v8, v9, v7, vcc_lo
; %bb.33:
	s_or_b32 exec_lo, exec_lo, s1
	global_store_d16_hi_b16 v[0:1], v8, off
.LBB136_34:
	s_or_b32 exec_lo, exec_lo, s0
	v_or_b32_e32 v0, 3, v6
	s_delay_alu instid0(VALU_DEP_1)
	v_cmp_gt_u32_e32 vcc_lo, s12, v0
	s_and_b32 exec_lo, exec_lo, vcc_lo
	s_cbranch_execz .LBB136_45
; %bb.35:
	v_mad_u64_u32 v[6:7], null, v0, s6, 0
	s_delay_alu instid0(VALU_DEP_1) | instskip(NEXT) | instid1(VALU_DEP_1)
	v_mov_b32_e32 v1, v7
	v_mad_u64_u32 v[7:8], null, v0, s7, v[1:2]
	s_delay_alu instid0(VALU_DEP_1) | instskip(NEXT) | instid1(VALU_DEP_1)
	v_lshlrev_b64 v[6:7], 2, v[6:7]
	v_add_co_u32 v6, vcc_lo, s4, v6
	s_delay_alu instid0(VALU_DEP_2)
	v_add_co_ci_u32_e32 v7, vcc_lo, s5, v7, vcc_lo
	global_load_b32 v6, v[6:7], off
	s_waitcnt vmcnt(0)
	v_cmp_neq_f32_e32 vcc_lo, 0, v6
	s_and_b32 exec_lo, exec_lo, vcc_lo
	s_cbranch_execz .LBB136_45
; %bb.36:
	v_mad_u64_u32 v[7:8], null, v0, s16, 0
	s_delay_alu instid0(VALU_DEP_1) | instskip(NEXT) | instid1(VALU_DEP_1)
	v_mov_b32_e32 v1, v8
	v_mad_u64_u32 v[8:9], null, v0, s17, v[1:2]
	v_mad_u64_u32 v[9:10], null, v0, s2, 0
	s_delay_alu instid0(VALU_DEP_2) | instskip(NEXT) | instid1(VALU_DEP_2)
	v_lshlrev_b64 v[7:8], 1, v[7:8]
	v_mov_b32_e32 v1, v10
	s_delay_alu instid0(VALU_DEP_1) | instskip(NEXT) | instid1(VALU_DEP_3)
	v_mad_u64_u32 v[10:11], null, v0, s3, v[1:2]
	v_add_co_u32 v0, vcc_lo, v4, v7
	s_delay_alu instid0(VALU_DEP_4) | instskip(SKIP_2) | instid1(VALU_DEP_1)
	v_add_co_ci_u32_e32 v1, vcc_lo, v5, v8, vcc_lo
	global_load_u16 v4, v[0:1], off
	v_lshlrev_b64 v[0:1], 1, v[9:10]
	v_add_co_u32 v0, vcc_lo, v2, v0
	s_delay_alu instid0(VALU_DEP_2) | instskip(SKIP_3) | instid1(VALU_DEP_1)
	v_add_co_ci_u32_e32 v1, vcc_lo, v3, v1, vcc_lo
	global_load_u16 v2, v[0:1], off
	s_waitcnt vmcnt(1)
	v_lshlrev_b32_e32 v3, 16, v4
	v_mul_f32_e32 v3, v6, v3
	s_delay_alu instid0(VALU_DEP_1) | instskip(NEXT) | instid1(VALU_DEP_1)
	v_and_b32_e32 v4, 0x7f800000, v3
	v_cmp_ne_u32_e32 vcc_lo, 0x7f800000, v4
                                        ; implicit-def: $vgpr4
	s_and_saveexec_b32 s0, vcc_lo
	s_delay_alu instid0(SALU_CYCLE_1)
	s_xor_b32 s0, exec_lo, s0
; %bb.37:
	v_bfe_u32 v4, v3, 16, 1
	s_delay_alu instid0(VALU_DEP_1)
	v_add3_u32 v4, v3, v4, 0x7fff
                                        ; implicit-def: $vgpr3
; %bb.38:
	s_and_not1_saveexec_b32 s0, s0
; %bb.39:
	v_and_b32_e32 v4, 0xffff, v3
	v_or_b32_e32 v5, 0x10000, v3
	s_delay_alu instid0(VALU_DEP_2) | instskip(NEXT) | instid1(VALU_DEP_2)
	v_cmp_eq_u32_e32 vcc_lo, 0, v4
	v_cndmask_b32_e32 v4, v5, v3, vcc_lo
; %bb.40:
	s_or_b32 exec_lo, exec_lo, s0
	s_delay_alu instid0(VALU_DEP_1) | instskip(SKIP_2) | instid1(VALU_DEP_1)
	v_and_b32_e32 v3, 0xffff0000, v4
	s_waitcnt vmcnt(0)
	v_lshlrev_b32_e32 v2, 16, v2
	v_add_f32_e32 v2, v2, v3
	s_delay_alu instid0(VALU_DEP_1) | instskip(NEXT) | instid1(VALU_DEP_1)
	v_and_b32_e32 v3, 0x7f800000, v2
	v_cmp_ne_u32_e32 vcc_lo, 0x7f800000, v3
                                        ; implicit-def: $vgpr3
	s_and_saveexec_b32 s0, vcc_lo
	s_delay_alu instid0(SALU_CYCLE_1)
	s_xor_b32 s0, exec_lo, s0
; %bb.41:
	v_bfe_u32 v3, v2, 16, 1
	s_delay_alu instid0(VALU_DEP_1)
	v_add3_u32 v3, v2, v3, 0x7fff
                                        ; implicit-def: $vgpr2
; %bb.42:
	s_and_not1_saveexec_b32 s0, s0
; %bb.43:
	v_and_b32_e32 v3, 0xffff, v2
	v_or_b32_e32 v4, 0x10000, v2
	s_delay_alu instid0(VALU_DEP_2) | instskip(NEXT) | instid1(VALU_DEP_2)
	v_cmp_eq_u32_e32 vcc_lo, 0, v3
	v_cndmask_b32_e32 v3, v4, v2, vcc_lo
; %bb.44:
	s_or_b32 exec_lo, exec_lo, s0
	global_store_d16_hi_b16 v[0:1], v3, off
.LBB136_45:
	s_nop 0
	s_sendmsg sendmsg(MSG_DEALLOC_VGPRS)
	s_endpgm
	.section	.rodata,"a",@progbits
	.p2align	6, 0x0
	.amdhsa_kernel _ZL27rocblas_axpy_kernel_batchedIiLi128ELi8EfPKfPK16rocblas_bfloat16PS2_EviT3_lT4_lT_lT5_lS8_li
		.amdhsa_group_segment_fixed_size 0
		.amdhsa_private_segment_fixed_size 0
		.amdhsa_kernarg_size 92
		.amdhsa_user_sgpr_count 14
		.amdhsa_user_sgpr_dispatch_ptr 0
		.amdhsa_user_sgpr_queue_ptr 0
		.amdhsa_user_sgpr_kernarg_segment_ptr 1
		.amdhsa_user_sgpr_dispatch_id 0
		.amdhsa_user_sgpr_private_segment_size 0
		.amdhsa_wavefront_size32 1
		.amdhsa_uses_dynamic_stack 0
		.amdhsa_enable_private_segment 0
		.amdhsa_system_sgpr_workgroup_id_x 1
		.amdhsa_system_sgpr_workgroup_id_y 0
		.amdhsa_system_sgpr_workgroup_id_z 1
		.amdhsa_system_sgpr_workgroup_info 0
		.amdhsa_system_vgpr_workitem_id 1
		.amdhsa_next_free_vgpr 13
		.amdhsa_next_free_sgpr 20
		.amdhsa_reserve_vcc 1
		.amdhsa_float_round_mode_32 0
		.amdhsa_float_round_mode_16_64 0
		.amdhsa_float_denorm_mode_32 3
		.amdhsa_float_denorm_mode_16_64 3
		.amdhsa_dx10_clamp 1
		.amdhsa_ieee_mode 1
		.amdhsa_fp16_overflow 0
		.amdhsa_workgroup_processor_mode 1
		.amdhsa_memory_ordered 1
		.amdhsa_forward_progress 0
		.amdhsa_shared_vgpr_count 0
		.amdhsa_exception_fp_ieee_invalid_op 0
		.amdhsa_exception_fp_denorm_src 0
		.amdhsa_exception_fp_ieee_div_zero 0
		.amdhsa_exception_fp_ieee_overflow 0
		.amdhsa_exception_fp_ieee_underflow 0
		.amdhsa_exception_fp_ieee_inexact 0
		.amdhsa_exception_int_div_zero 0
	.end_amdhsa_kernel
	.section	.text._ZL27rocblas_axpy_kernel_batchedIiLi128ELi8EfPKfPK16rocblas_bfloat16PS2_EviT3_lT4_lT_lT5_lS8_li,"axG",@progbits,_ZL27rocblas_axpy_kernel_batchedIiLi128ELi8EfPKfPK16rocblas_bfloat16PS2_EviT3_lT4_lT_lT5_lS8_li,comdat
.Lfunc_end136:
	.size	_ZL27rocblas_axpy_kernel_batchedIiLi128ELi8EfPKfPK16rocblas_bfloat16PS2_EviT3_lT4_lT_lT5_lS8_li, .Lfunc_end136-_ZL27rocblas_axpy_kernel_batchedIiLi128ELi8EfPKfPK16rocblas_bfloat16PS2_EviT3_lT4_lT_lT5_lS8_li
                                        ; -- End function
	.section	.AMDGPU.csdata,"",@progbits
; Kernel info:
; codeLenInByte = 2060
; NumSgprs: 22
; NumVgprs: 13
; ScratchSize: 0
; MemoryBound: 0
; FloatMode: 240
; IeeeMode: 1
; LDSByteSize: 0 bytes/workgroup (compile time only)
; SGPRBlocks: 2
; VGPRBlocks: 1
; NumSGPRsForWavesPerEU: 22
; NumVGPRsForWavesPerEU: 13
; Occupancy: 16
; WaveLimiterHint : 0
; COMPUTE_PGM_RSRC2:SCRATCH_EN: 0
; COMPUTE_PGM_RSRC2:USER_SGPR: 14
; COMPUTE_PGM_RSRC2:TRAP_HANDLER: 0
; COMPUTE_PGM_RSRC2:TGID_X_EN: 1
; COMPUTE_PGM_RSRC2:TGID_Y_EN: 0
; COMPUTE_PGM_RSRC2:TGID_Z_EN: 1
; COMPUTE_PGM_RSRC2:TIDIG_COMP_CNT: 1
	.section	.text._ZL27rocblas_axpy_kernel_batchedIiLi128ELi8EffPK16rocblas_bfloat16PS0_EviT3_lT4_lT_lT5_lS6_li,"axG",@progbits,_ZL27rocblas_axpy_kernel_batchedIiLi128ELi8EffPK16rocblas_bfloat16PS0_EviT3_lT4_lT_lT5_lS6_li,comdat
	.globl	_ZL27rocblas_axpy_kernel_batchedIiLi128ELi8EffPK16rocblas_bfloat16PS0_EviT3_lT4_lT_lT5_lS6_li ; -- Begin function _ZL27rocblas_axpy_kernel_batchedIiLi128ELi8EffPK16rocblas_bfloat16PS0_EviT3_lT4_lT_lT5_lS6_li
	.p2align	8
	.type	_ZL27rocblas_axpy_kernel_batchedIiLi128ELi8EffPK16rocblas_bfloat16PS0_EviT3_lT4_lT_lT5_lS6_li,@function
_ZL27rocblas_axpy_kernel_batchedIiLi128ELi8EffPK16rocblas_bfloat16PS0_EviT3_lT4_lT_lT5_lS6_li: ; @_ZL27rocblas_axpy_kernel_batchedIiLi128ELi8EffPK16rocblas_bfloat16PS0_EviT3_lT4_lT_lT5_lS6_li
; %bb.0:
	s_load_b64 s[2:3], s[0:1], 0x0
	v_dual_mov_b32 v2, 0 :: v_dual_and_b32 v1, 0x3ff, v0
	s_delay_alu instid0(VALU_DEP_1)
	v_lshl_add_u32 v1, s14, 7, v1
	s_waitcnt lgkmcnt(0)
	s_ashr_i32 s5, s2, 31
	s_mov_b32 s4, s2
	s_mov_b32 s2, exec_lo
	v_cmpx_gt_i64_e64 s[4:5], v[1:2]
	s_cbranch_execz .LBB137_41
; %bb.1:
	s_clause 0x6
	s_load_b32 s12, s[0:1], 0x20
	s_load_b32 s13, s[0:1], 0x40
	s_load_b128 s[16:19], s[0:1], 0x10
	s_load_b64 s[8:9], s[0:1], 0x48
	s_load_b32 s2, s[0:1], 0x50
	s_load_b64 s[10:11], s[0:1], 0x38
	s_load_b128 s[4:7], s[0:1], 0x28
	v_bfe_u32 v7, v0, 10, 10
	v_cmp_neq_f32_e64 s1, s3, 0
	s_waitcnt lgkmcnt(0)
	v_mad_u64_u32 v[2:3], null, s12, v1, 0
	v_mad_u64_u32 v[4:5], null, s13, v1, 0
	s_ashr_i32 s0, s12, 31
	s_delay_alu instid0(VALU_DEP_1) | instskip(NEXT) | instid1(VALU_DEP_2)
	v_mov_b32_e32 v0, v5
	v_mad_u64_u32 v[5:6], null, s0, v1, v[3:4]
	v_lshlrev_b32_e32 v3, 2, v7
	s_ashr_i32 s0, s13, 31
	s_lshl_b64 s[12:13], s[18:19], 1
	v_mad_u64_u32 v[7:8], null, s0, v1, v[0:1]
	s_delay_alu instid0(VALU_DEP_2) | instskip(NEXT) | instid1(VALU_DEP_4)
	v_lshl_add_u32 v6, s15, 5, v3
	v_mov_b32_e32 v3, v5
	s_add_u32 s0, s12, s16
	s_addc_u32 s12, s13, s17
	s_lshl_b64 s[10:11], s[10:11], 1
	v_cmp_gt_u32_e32 vcc_lo, s2, v6
	s_delay_alu instid0(VALU_DEP_4) | instskip(SKIP_3) | instid1(VALU_DEP_2)
	v_mov_b32_e32 v5, v7
	v_lshlrev_b64 v[0:1], 1, v[2:3]
	s_add_u32 s6, s10, s6
	s_addc_u32 s7, s11, s7
	v_lshlrev_b64 v[2:3], 1, v[4:5]
	s_delay_alu instid0(VALU_DEP_2) | instskip(NEXT) | instid1(VALU_DEP_1)
	v_add_co_u32 v4, s0, s0, v0
	v_add_co_ci_u32_e64 v5, s0, s12, v1, s0
	s_delay_alu instid0(VALU_DEP_3) | instskip(NEXT) | instid1(VALU_DEP_1)
	v_add_co_u32 v2, s0, s6, v2
	v_add_co_ci_u32_e64 v3, s0, s7, v3, s0
	s_and_b32 s6, s1, vcc_lo
	s_delay_alu instid0(SALU_CYCLE_1)
	s_and_saveexec_b32 s0, s6
	s_cbranch_execz .LBB137_11
; %bb.2:
	v_mad_u64_u32 v[0:1], null, v6, s4, 0
	s_delay_alu instid0(VALU_DEP_1) | instskip(SKIP_1) | instid1(VALU_DEP_2)
	v_mad_u64_u32 v[7:8], null, v6, s5, v[1:2]
	v_mad_u64_u32 v[8:9], null, v6, s8, 0
	v_mov_b32_e32 v1, v7
	s_delay_alu instid0(VALU_DEP_2) | instskip(NEXT) | instid1(VALU_DEP_2)
	v_mov_b32_e32 v7, v9
	v_lshlrev_b64 v[0:1], 1, v[0:1]
	s_delay_alu instid0(VALU_DEP_2) | instskip(NEXT) | instid1(VALU_DEP_2)
	v_mad_u64_u32 v[9:10], null, v6, s9, v[7:8]
	v_add_co_u32 v0, vcc_lo, v4, v0
	s_delay_alu instid0(VALU_DEP_3) | instskip(SKIP_2) | instid1(VALU_DEP_1)
	v_add_co_ci_u32_e32 v1, vcc_lo, v5, v1, vcc_lo
	global_load_u16 v10, v[0:1], off
	v_lshlrev_b64 v[0:1], 1, v[8:9]
	v_add_co_u32 v0, vcc_lo, v2, v0
	s_delay_alu instid0(VALU_DEP_2) | instskip(SKIP_3) | instid1(VALU_DEP_1)
	v_add_co_ci_u32_e32 v1, vcc_lo, v3, v1, vcc_lo
	global_load_u16 v7, v[0:1], off
	s_waitcnt vmcnt(1)
	v_lshlrev_b32_e32 v8, 16, v10
	v_mul_f32_e32 v8, s3, v8
	s_delay_alu instid0(VALU_DEP_1) | instskip(NEXT) | instid1(VALU_DEP_1)
	v_and_b32_e32 v9, 0x7f800000, v8
	v_cmp_ne_u32_e32 vcc_lo, 0x7f800000, v9
                                        ; implicit-def: $vgpr9
	s_and_saveexec_b32 s6, vcc_lo
	s_delay_alu instid0(SALU_CYCLE_1)
	s_xor_b32 s6, exec_lo, s6
; %bb.3:
	v_bfe_u32 v9, v8, 16, 1
	s_delay_alu instid0(VALU_DEP_1)
	v_add3_u32 v9, v8, v9, 0x7fff
                                        ; implicit-def: $vgpr8
; %bb.4:
	s_and_not1_saveexec_b32 s6, s6
; %bb.5:
	v_and_b32_e32 v9, 0xffff, v8
	v_or_b32_e32 v10, 0x10000, v8
	s_delay_alu instid0(VALU_DEP_2) | instskip(NEXT) | instid1(VALU_DEP_2)
	v_cmp_eq_u32_e32 vcc_lo, 0, v9
	v_cndmask_b32_e32 v9, v10, v8, vcc_lo
; %bb.6:
	s_or_b32 exec_lo, exec_lo, s6
	s_delay_alu instid0(VALU_DEP_1) | instskip(SKIP_2) | instid1(VALU_DEP_1)
	v_and_b32_e32 v8, 0xffff0000, v9
	s_waitcnt vmcnt(0)
	v_lshlrev_b32_e32 v7, 16, v7
	v_add_f32_e32 v7, v7, v8
	s_delay_alu instid0(VALU_DEP_1) | instskip(NEXT) | instid1(VALU_DEP_1)
	v_and_b32_e32 v8, 0x7f800000, v7
	v_cmp_ne_u32_e32 vcc_lo, 0x7f800000, v8
                                        ; implicit-def: $vgpr8
	s_and_saveexec_b32 s6, vcc_lo
	s_delay_alu instid0(SALU_CYCLE_1)
	s_xor_b32 s6, exec_lo, s6
; %bb.7:
	v_bfe_u32 v8, v7, 16, 1
	s_delay_alu instid0(VALU_DEP_1)
	v_add3_u32 v8, v7, v8, 0x7fff
                                        ; implicit-def: $vgpr7
; %bb.8:
	s_and_not1_saveexec_b32 s6, s6
; %bb.9:
	v_and_b32_e32 v8, 0xffff, v7
	v_or_b32_e32 v9, 0x10000, v7
	s_delay_alu instid0(VALU_DEP_2) | instskip(NEXT) | instid1(VALU_DEP_2)
	v_cmp_eq_u32_e32 vcc_lo, 0, v8
	v_cndmask_b32_e32 v8, v9, v7, vcc_lo
; %bb.10:
	s_or_b32 exec_lo, exec_lo, s6
	global_store_d16_hi_b16 v[0:1], v8, off
.LBB137_11:
	s_or_b32 exec_lo, exec_lo, s0
	v_or_b32_e32 v0, 1, v6
	s_delay_alu instid0(VALU_DEP_1) | instskip(SKIP_1) | instid1(SALU_CYCLE_1)
	v_cmp_gt_u32_e32 vcc_lo, s2, v0
	s_and_b32 s6, s1, vcc_lo
	s_and_saveexec_b32 s0, s6
	s_cbranch_execz .LBB137_21
; %bb.12:
	v_mad_u64_u32 v[7:8], null, v0, s4, 0
	s_delay_alu instid0(VALU_DEP_1) | instskip(NEXT) | instid1(VALU_DEP_1)
	v_mov_b32_e32 v1, v8
	v_mad_u64_u32 v[8:9], null, v0, s5, v[1:2]
	v_mad_u64_u32 v[9:10], null, v0, s8, 0
	s_delay_alu instid0(VALU_DEP_2) | instskip(NEXT) | instid1(VALU_DEP_2)
	v_lshlrev_b64 v[7:8], 1, v[7:8]
	v_mov_b32_e32 v1, v10
	s_delay_alu instid0(VALU_DEP_1) | instskip(NEXT) | instid1(VALU_DEP_3)
	v_mad_u64_u32 v[10:11], null, v0, s9, v[1:2]
	v_add_co_u32 v0, vcc_lo, v4, v7
	s_delay_alu instid0(VALU_DEP_4) | instskip(SKIP_2) | instid1(VALU_DEP_1)
	v_add_co_ci_u32_e32 v1, vcc_lo, v5, v8, vcc_lo
	global_load_u16 v8, v[0:1], off
	v_lshlrev_b64 v[0:1], 1, v[9:10]
	v_add_co_u32 v0, vcc_lo, v2, v0
	s_delay_alu instid0(VALU_DEP_2) | instskip(SKIP_3) | instid1(VALU_DEP_1)
	v_add_co_ci_u32_e32 v1, vcc_lo, v3, v1, vcc_lo
	global_load_u16 v7, v[0:1], off
	s_waitcnt vmcnt(1)
	v_lshlrev_b32_e32 v8, 16, v8
	v_mul_f32_e32 v8, s3, v8
	s_delay_alu instid0(VALU_DEP_1) | instskip(NEXT) | instid1(VALU_DEP_1)
	v_and_b32_e32 v9, 0x7f800000, v8
	v_cmp_ne_u32_e32 vcc_lo, 0x7f800000, v9
                                        ; implicit-def: $vgpr9
	s_and_saveexec_b32 s6, vcc_lo
	s_delay_alu instid0(SALU_CYCLE_1)
	s_xor_b32 s6, exec_lo, s6
; %bb.13:
	v_bfe_u32 v9, v8, 16, 1
	s_delay_alu instid0(VALU_DEP_1)
	v_add3_u32 v9, v8, v9, 0x7fff
                                        ; implicit-def: $vgpr8
; %bb.14:
	s_and_not1_saveexec_b32 s6, s6
; %bb.15:
	v_and_b32_e32 v9, 0xffff, v8
	v_or_b32_e32 v10, 0x10000, v8
	s_delay_alu instid0(VALU_DEP_2) | instskip(NEXT) | instid1(VALU_DEP_2)
	v_cmp_eq_u32_e32 vcc_lo, 0, v9
	v_cndmask_b32_e32 v9, v10, v8, vcc_lo
; %bb.16:
	s_or_b32 exec_lo, exec_lo, s6
	s_delay_alu instid0(VALU_DEP_1) | instskip(SKIP_2) | instid1(VALU_DEP_1)
	v_and_b32_e32 v8, 0xffff0000, v9
	s_waitcnt vmcnt(0)
	v_lshlrev_b32_e32 v7, 16, v7
	v_add_f32_e32 v7, v7, v8
	s_delay_alu instid0(VALU_DEP_1) | instskip(NEXT) | instid1(VALU_DEP_1)
	v_and_b32_e32 v8, 0x7f800000, v7
	v_cmp_ne_u32_e32 vcc_lo, 0x7f800000, v8
                                        ; implicit-def: $vgpr8
	s_and_saveexec_b32 s6, vcc_lo
	s_delay_alu instid0(SALU_CYCLE_1)
	s_xor_b32 s6, exec_lo, s6
; %bb.17:
	v_bfe_u32 v8, v7, 16, 1
	s_delay_alu instid0(VALU_DEP_1)
	v_add3_u32 v8, v7, v8, 0x7fff
                                        ; implicit-def: $vgpr7
; %bb.18:
	s_and_not1_saveexec_b32 s6, s6
; %bb.19:
	v_and_b32_e32 v8, 0xffff, v7
	v_or_b32_e32 v9, 0x10000, v7
	s_delay_alu instid0(VALU_DEP_2) | instskip(NEXT) | instid1(VALU_DEP_2)
	v_cmp_eq_u32_e32 vcc_lo, 0, v8
	v_cndmask_b32_e32 v8, v9, v7, vcc_lo
; %bb.20:
	s_or_b32 exec_lo, exec_lo, s6
	global_store_d16_hi_b16 v[0:1], v8, off
.LBB137_21:
	s_or_b32 exec_lo, exec_lo, s0
	v_or_b32_e32 v0, 2, v6
	s_delay_alu instid0(VALU_DEP_1) | instskip(SKIP_1) | instid1(SALU_CYCLE_1)
	v_cmp_gt_u32_e32 vcc_lo, s2, v0
	s_and_b32 s6, s1, vcc_lo
	s_and_saveexec_b32 s0, s6
	s_cbranch_execz .LBB137_31
; %bb.22:
	v_mad_u64_u32 v[7:8], null, v0, s4, 0
	s_delay_alu instid0(VALU_DEP_1) | instskip(NEXT) | instid1(VALU_DEP_1)
	v_mov_b32_e32 v1, v8
	v_mad_u64_u32 v[8:9], null, v0, s5, v[1:2]
	v_mad_u64_u32 v[9:10], null, v0, s8, 0
	s_delay_alu instid0(VALU_DEP_2) | instskip(NEXT) | instid1(VALU_DEP_2)
	v_lshlrev_b64 v[7:8], 1, v[7:8]
	v_mov_b32_e32 v1, v10
	s_delay_alu instid0(VALU_DEP_1) | instskip(NEXT) | instid1(VALU_DEP_3)
	v_mad_u64_u32 v[10:11], null, v0, s9, v[1:2]
	v_add_co_u32 v0, vcc_lo, v4, v7
	s_delay_alu instid0(VALU_DEP_4) | instskip(SKIP_2) | instid1(VALU_DEP_1)
	v_add_co_ci_u32_e32 v1, vcc_lo, v5, v8, vcc_lo
	global_load_u16 v8, v[0:1], off
	v_lshlrev_b64 v[0:1], 1, v[9:10]
	v_add_co_u32 v0, vcc_lo, v2, v0
	s_delay_alu instid0(VALU_DEP_2) | instskip(SKIP_3) | instid1(VALU_DEP_1)
	v_add_co_ci_u32_e32 v1, vcc_lo, v3, v1, vcc_lo
	global_load_u16 v7, v[0:1], off
	s_waitcnt vmcnt(1)
	v_lshlrev_b32_e32 v8, 16, v8
	v_mul_f32_e32 v8, s3, v8
	s_delay_alu instid0(VALU_DEP_1) | instskip(NEXT) | instid1(VALU_DEP_1)
	v_and_b32_e32 v9, 0x7f800000, v8
	v_cmp_ne_u32_e32 vcc_lo, 0x7f800000, v9
                                        ; implicit-def: $vgpr9
	s_and_saveexec_b32 s6, vcc_lo
	s_delay_alu instid0(SALU_CYCLE_1)
	s_xor_b32 s6, exec_lo, s6
; %bb.23:
	v_bfe_u32 v9, v8, 16, 1
	s_delay_alu instid0(VALU_DEP_1)
	v_add3_u32 v9, v8, v9, 0x7fff
                                        ; implicit-def: $vgpr8
; %bb.24:
	s_and_not1_saveexec_b32 s6, s6
; %bb.25:
	v_and_b32_e32 v9, 0xffff, v8
	v_or_b32_e32 v10, 0x10000, v8
	s_delay_alu instid0(VALU_DEP_2) | instskip(NEXT) | instid1(VALU_DEP_2)
	v_cmp_eq_u32_e32 vcc_lo, 0, v9
	v_cndmask_b32_e32 v9, v10, v8, vcc_lo
; %bb.26:
	s_or_b32 exec_lo, exec_lo, s6
	s_delay_alu instid0(VALU_DEP_1) | instskip(SKIP_2) | instid1(VALU_DEP_1)
	v_and_b32_e32 v8, 0xffff0000, v9
	s_waitcnt vmcnt(0)
	v_lshlrev_b32_e32 v7, 16, v7
	v_add_f32_e32 v7, v7, v8
	s_delay_alu instid0(VALU_DEP_1) | instskip(NEXT) | instid1(VALU_DEP_1)
	v_and_b32_e32 v8, 0x7f800000, v7
	v_cmp_ne_u32_e32 vcc_lo, 0x7f800000, v8
                                        ; implicit-def: $vgpr8
	s_and_saveexec_b32 s6, vcc_lo
	s_delay_alu instid0(SALU_CYCLE_1)
	s_xor_b32 s6, exec_lo, s6
; %bb.27:
	v_bfe_u32 v8, v7, 16, 1
	s_delay_alu instid0(VALU_DEP_1)
	v_add3_u32 v8, v7, v8, 0x7fff
                                        ; implicit-def: $vgpr7
; %bb.28:
	s_and_not1_saveexec_b32 s6, s6
; %bb.29:
	v_and_b32_e32 v8, 0xffff, v7
	v_or_b32_e32 v9, 0x10000, v7
	s_delay_alu instid0(VALU_DEP_2) | instskip(NEXT) | instid1(VALU_DEP_2)
	v_cmp_eq_u32_e32 vcc_lo, 0, v8
	v_cndmask_b32_e32 v8, v9, v7, vcc_lo
; %bb.30:
	s_or_b32 exec_lo, exec_lo, s6
	global_store_d16_hi_b16 v[0:1], v8, off
.LBB137_31:
	s_or_b32 exec_lo, exec_lo, s0
	v_or_b32_e32 v0, 3, v6
	s_delay_alu instid0(VALU_DEP_1) | instskip(SKIP_1) | instid1(SALU_CYCLE_1)
	v_cmp_gt_u32_e32 vcc_lo, s2, v0
	s_and_b32 s0, s1, vcc_lo
	s_and_b32 exec_lo, exec_lo, s0
	s_cbranch_execz .LBB137_41
; %bb.32:
	v_mad_u64_u32 v[6:7], null, v0, s4, 0
	s_delay_alu instid0(VALU_DEP_1) | instskip(NEXT) | instid1(VALU_DEP_1)
	v_mov_b32_e32 v1, v7
	v_mad_u64_u32 v[7:8], null, v0, s5, v[1:2]
	v_mad_u64_u32 v[8:9], null, v0, s8, 0
	s_delay_alu instid0(VALU_DEP_2) | instskip(NEXT) | instid1(VALU_DEP_2)
	v_lshlrev_b64 v[6:7], 1, v[6:7]
	v_mov_b32_e32 v1, v9
	s_delay_alu instid0(VALU_DEP_1) | instskip(NEXT) | instid1(VALU_DEP_3)
	v_mad_u64_u32 v[9:10], null, v0, s9, v[1:2]
	v_add_co_u32 v0, vcc_lo, v4, v6
	s_delay_alu instid0(VALU_DEP_4) | instskip(SKIP_2) | instid1(VALU_DEP_1)
	v_add_co_ci_u32_e32 v1, vcc_lo, v5, v7, vcc_lo
	global_load_u16 v4, v[0:1], off
	v_lshlrev_b64 v[0:1], 1, v[8:9]
	v_add_co_u32 v0, vcc_lo, v2, v0
	s_delay_alu instid0(VALU_DEP_2) | instskip(SKIP_3) | instid1(VALU_DEP_1)
	v_add_co_ci_u32_e32 v1, vcc_lo, v3, v1, vcc_lo
	global_load_u16 v2, v[0:1], off
	s_waitcnt vmcnt(1)
	v_lshlrev_b32_e32 v3, 16, v4
	v_mul_f32_e32 v3, s3, v3
	s_delay_alu instid0(VALU_DEP_1) | instskip(NEXT) | instid1(VALU_DEP_1)
	v_and_b32_e32 v4, 0x7f800000, v3
	v_cmp_ne_u32_e32 vcc_lo, 0x7f800000, v4
                                        ; implicit-def: $vgpr4
	s_and_saveexec_b32 s0, vcc_lo
	s_delay_alu instid0(SALU_CYCLE_1)
	s_xor_b32 s0, exec_lo, s0
; %bb.33:
	v_bfe_u32 v4, v3, 16, 1
	s_delay_alu instid0(VALU_DEP_1)
	v_add3_u32 v4, v3, v4, 0x7fff
                                        ; implicit-def: $vgpr3
; %bb.34:
	s_and_not1_saveexec_b32 s0, s0
; %bb.35:
	v_and_b32_e32 v4, 0xffff, v3
	v_or_b32_e32 v5, 0x10000, v3
	s_delay_alu instid0(VALU_DEP_2) | instskip(NEXT) | instid1(VALU_DEP_2)
	v_cmp_eq_u32_e32 vcc_lo, 0, v4
	v_cndmask_b32_e32 v4, v5, v3, vcc_lo
; %bb.36:
	s_or_b32 exec_lo, exec_lo, s0
	s_delay_alu instid0(VALU_DEP_1) | instskip(SKIP_2) | instid1(VALU_DEP_1)
	v_and_b32_e32 v3, 0xffff0000, v4
	s_waitcnt vmcnt(0)
	v_lshlrev_b32_e32 v2, 16, v2
	v_add_f32_e32 v2, v2, v3
	s_delay_alu instid0(VALU_DEP_1) | instskip(NEXT) | instid1(VALU_DEP_1)
	v_and_b32_e32 v3, 0x7f800000, v2
	v_cmp_ne_u32_e32 vcc_lo, 0x7f800000, v3
                                        ; implicit-def: $vgpr3
	s_and_saveexec_b32 s0, vcc_lo
	s_delay_alu instid0(SALU_CYCLE_1)
	s_xor_b32 s0, exec_lo, s0
; %bb.37:
	v_bfe_u32 v3, v2, 16, 1
	s_delay_alu instid0(VALU_DEP_1)
	v_add3_u32 v3, v2, v3, 0x7fff
                                        ; implicit-def: $vgpr2
; %bb.38:
	s_and_not1_saveexec_b32 s0, s0
; %bb.39:
	v_and_b32_e32 v3, 0xffff, v2
	v_or_b32_e32 v4, 0x10000, v2
	s_delay_alu instid0(VALU_DEP_2) | instskip(NEXT) | instid1(VALU_DEP_2)
	v_cmp_eq_u32_e32 vcc_lo, 0, v3
	v_cndmask_b32_e32 v3, v4, v2, vcc_lo
; %bb.40:
	s_or_b32 exec_lo, exec_lo, s0
	global_store_d16_hi_b16 v[0:1], v3, off
.LBB137_41:
	s_nop 0
	s_sendmsg sendmsg(MSG_DEALLOC_VGPRS)
	s_endpgm
	.section	.rodata,"a",@progbits
	.p2align	6, 0x0
	.amdhsa_kernel _ZL27rocblas_axpy_kernel_batchedIiLi128ELi8EffPK16rocblas_bfloat16PS0_EviT3_lT4_lT_lT5_lS6_li
		.amdhsa_group_segment_fixed_size 0
		.amdhsa_private_segment_fixed_size 0
		.amdhsa_kernarg_size 84
		.amdhsa_user_sgpr_count 14
		.amdhsa_user_sgpr_dispatch_ptr 0
		.amdhsa_user_sgpr_queue_ptr 0
		.amdhsa_user_sgpr_kernarg_segment_ptr 1
		.amdhsa_user_sgpr_dispatch_id 0
		.amdhsa_user_sgpr_private_segment_size 0
		.amdhsa_wavefront_size32 1
		.amdhsa_uses_dynamic_stack 0
		.amdhsa_enable_private_segment 0
		.amdhsa_system_sgpr_workgroup_id_x 1
		.amdhsa_system_sgpr_workgroup_id_y 0
		.amdhsa_system_sgpr_workgroup_id_z 1
		.amdhsa_system_sgpr_workgroup_info 0
		.amdhsa_system_vgpr_workitem_id 1
		.amdhsa_next_free_vgpr 12
		.amdhsa_next_free_sgpr 20
		.amdhsa_reserve_vcc 1
		.amdhsa_float_round_mode_32 0
		.amdhsa_float_round_mode_16_64 0
		.amdhsa_float_denorm_mode_32 3
		.amdhsa_float_denorm_mode_16_64 3
		.amdhsa_dx10_clamp 1
		.amdhsa_ieee_mode 1
		.amdhsa_fp16_overflow 0
		.amdhsa_workgroup_processor_mode 1
		.amdhsa_memory_ordered 1
		.amdhsa_forward_progress 0
		.amdhsa_shared_vgpr_count 0
		.amdhsa_exception_fp_ieee_invalid_op 0
		.amdhsa_exception_fp_denorm_src 0
		.amdhsa_exception_fp_ieee_div_zero 0
		.amdhsa_exception_fp_ieee_overflow 0
		.amdhsa_exception_fp_ieee_underflow 0
		.amdhsa_exception_fp_ieee_inexact 0
		.amdhsa_exception_int_div_zero 0
	.end_amdhsa_kernel
	.section	.text._ZL27rocblas_axpy_kernel_batchedIiLi128ELi8EffPK16rocblas_bfloat16PS0_EviT3_lT4_lT_lT5_lS6_li,"axG",@progbits,_ZL27rocblas_axpy_kernel_batchedIiLi128ELi8EffPK16rocblas_bfloat16PS0_EviT3_lT4_lT_lT5_lS6_li,comdat
.Lfunc_end137:
	.size	_ZL27rocblas_axpy_kernel_batchedIiLi128ELi8EffPK16rocblas_bfloat16PS0_EviT3_lT4_lT_lT5_lS6_li, .Lfunc_end137-_ZL27rocblas_axpy_kernel_batchedIiLi128ELi8EffPK16rocblas_bfloat16PS0_EviT3_lT4_lT_lT5_lS6_li
                                        ; -- End function
	.section	.AMDGPU.csdata,"",@progbits
; Kernel info:
; codeLenInByte = 1788
; NumSgprs: 22
; NumVgprs: 12
; ScratchSize: 0
; MemoryBound: 0
; FloatMode: 240
; IeeeMode: 1
; LDSByteSize: 0 bytes/workgroup (compile time only)
; SGPRBlocks: 2
; VGPRBlocks: 1
; NumSGPRsForWavesPerEU: 22
; NumVGPRsForWavesPerEU: 12
; Occupancy: 16
; WaveLimiterHint : 0
; COMPUTE_PGM_RSRC2:SCRATCH_EN: 0
; COMPUTE_PGM_RSRC2:USER_SGPR: 14
; COMPUTE_PGM_RSRC2:TRAP_HANDLER: 0
; COMPUTE_PGM_RSRC2:TGID_X_EN: 1
; COMPUTE_PGM_RSRC2:TGID_Y_EN: 0
; COMPUTE_PGM_RSRC2:TGID_Z_EN: 1
; COMPUTE_PGM_RSRC2:TIDIG_COMP_CNT: 1
	.section	.text._ZL19rocblas_axpy_kernelIiLi256EfPKfPK16rocblas_bfloat16PS2_EviT2_lT3_lT_lT4_lS8_li,"axG",@progbits,_ZL19rocblas_axpy_kernelIiLi256EfPKfPK16rocblas_bfloat16PS2_EviT2_lT3_lT_lT4_lS8_li,comdat
	.globl	_ZL19rocblas_axpy_kernelIiLi256EfPKfPK16rocblas_bfloat16PS2_EviT2_lT3_lT_lT4_lS8_li ; -- Begin function _ZL19rocblas_axpy_kernelIiLi256EfPKfPK16rocblas_bfloat16PS2_EviT2_lT3_lT_lT4_lS8_li
	.p2align	8
	.type	_ZL19rocblas_axpy_kernelIiLi256EfPKfPK16rocblas_bfloat16PS2_EviT2_lT3_lT_lT4_lS8_li,@function
_ZL19rocblas_axpy_kernelIiLi256EfPKfPK16rocblas_bfloat16PS2_EviT2_lT3_lT_lT4_lS8_li: ; @_ZL19rocblas_axpy_kernelIiLi256EfPKfPK16rocblas_bfloat16PS2_EviT2_lT3_lT_lT4_lS8_li
; %bb.0:
	s_clause 0x1
	s_load_b128 s[4:7], s[0:1], 0x8
	s_load_b32 s8, s[0:1], 0x0
	v_lshl_or_b32 v0, s14, 8, v0
	v_mov_b32_e32 v1, 0
	s_waitcnt lgkmcnt(0)
	s_mul_i32 s2, s15, s7
	s_mul_hi_u32 s3, s15, s6
	s_ashr_i32 s9, s8, 31
	s_add_i32 s3, s3, s2
	s_mul_i32 s2, s15, s6
	v_cmp_gt_i64_e32 vcc_lo, s[8:9], v[0:1]
	s_lshl_b64 s[2:3], s[2:3], 2
	s_delay_alu instid0(SALU_CYCLE_1) | instskip(SKIP_4) | instid1(VALU_DEP_1)
	s_add_u32 s2, s4, s2
	s_addc_u32 s3, s5, s3
	s_load_b32 s2, s[2:3], 0x0
	s_waitcnt lgkmcnt(0)
	v_cmp_neq_f32_e64 s3, s2, 0
	s_and_b32 s3, vcc_lo, s3
	s_delay_alu instid0(SALU_CYCLE_1)
	s_and_saveexec_b32 s4, s3
	s_cbranch_execz .LBB138_10
; %bb.1:
	s_clause 0x5
	s_load_b32 s3, s[0:1], 0x28
	s_load_b128 s[4:7], s[0:1], 0x30
	s_load_b32 s14, s[0:1], 0x48
	s_load_b128 s[8:11], s[0:1], 0x18
	s_load_b64 s[12:13], s[0:1], 0x40
	s_load_b64 s[0:1], s[0:1], 0x50
	s_waitcnt lgkmcnt(0)
	v_mad_u64_u32 v[1:2], null, s3, v0, 0
	s_ashr_i32 s3, s3, 31
	s_mul_i32 s5, s15, s5
	s_mul_i32 s1, s15, s1
	s_delay_alu instid0(VALU_DEP_1)
	v_mad_u64_u32 v[3:4], null, s3, v0, v[2:3]
	v_mad_u64_u32 v[4:5], null, s14, v0, 0
	s_mul_hi_u32 s3, s15, s4
	s_mul_i32 s4, s15, s4
	s_add_i32 s5, s3, s5
	s_ashr_i32 s3, s14, 31
	s_delay_alu instid0(VALU_DEP_2) | instskip(SKIP_1) | instid1(VALU_DEP_2)
	v_mov_b32_e32 v2, v3
	s_lshl_b64 s[4:5], s[4:5], 1
	v_mov_b32_e32 v3, v5
	s_add_u32 s8, s8, s4
	s_addc_u32 s9, s9, s5
	v_lshlrev_b64 v[1:2], 1, v[1:2]
	s_lshl_b64 s[4:5], s[10:11], 1
	v_mad_u64_u32 v[5:6], null, s3, v0, v[3:4]
	s_add_u32 s4, s4, s8
	s_addc_u32 s5, s5, s9
	s_delay_alu instid0(VALU_DEP_2)
	v_add_co_u32 v0, vcc_lo, s4, v1
	v_add_co_ci_u32_e32 v1, vcc_lo, s5, v2, vcc_lo
	s_mul_hi_u32 s3, s15, s0
	s_mul_i32 s0, s15, s0
	s_add_i32 s1, s3, s1
	global_load_u16 v3, v[0:1], off
	s_lshl_b64 s[0:1], s[0:1], 1
	v_lshlrev_b64 v[0:1], 1, v[4:5]
	s_add_u32 s3, s6, s0
	s_addc_u32 s4, s7, s1
	s_lshl_b64 s[0:1], s[12:13], 1
	s_delay_alu instid0(SALU_CYCLE_1)
	s_add_u32 s0, s0, s3
	s_addc_u32 s1, s1, s4
	v_add_co_u32 v0, vcc_lo, s0, v0
	v_add_co_ci_u32_e32 v1, vcc_lo, s1, v1, vcc_lo
	global_load_u16 v2, v[0:1], off
	s_waitcnt vmcnt(1)
	v_lshlrev_b32_e32 v3, 16, v3
	s_delay_alu instid0(VALU_DEP_1) | instskip(NEXT) | instid1(VALU_DEP_1)
	v_mul_f32_e32 v3, s2, v3
	v_and_b32_e32 v4, 0x7f800000, v3
	s_delay_alu instid0(VALU_DEP_1) | instskip(SKIP_1) | instid1(SALU_CYCLE_1)
	v_cmp_ne_u32_e32 vcc_lo, 0x7f800000, v4
                                        ; implicit-def: $vgpr4
	s_and_saveexec_b32 s0, vcc_lo
	s_xor_b32 s0, exec_lo, s0
; %bb.2:
	v_bfe_u32 v4, v3, 16, 1
	s_delay_alu instid0(VALU_DEP_1)
	v_add3_u32 v4, v3, v4, 0x7fff
                                        ; implicit-def: $vgpr3
; %bb.3:
	s_and_not1_saveexec_b32 s0, s0
; %bb.4:
	v_and_b32_e32 v4, 0xffff, v3
	v_or_b32_e32 v5, 0x10000, v3
	s_delay_alu instid0(VALU_DEP_2) | instskip(NEXT) | instid1(VALU_DEP_2)
	v_cmp_eq_u32_e32 vcc_lo, 0, v4
	v_cndmask_b32_e32 v4, v5, v3, vcc_lo
; %bb.5:
	s_or_b32 exec_lo, exec_lo, s0
	s_delay_alu instid0(VALU_DEP_1) | instskip(SKIP_2) | instid1(VALU_DEP_1)
	v_and_b32_e32 v3, 0xffff0000, v4
	s_waitcnt vmcnt(0)
	v_lshlrev_b32_e32 v2, 16, v2
	v_add_f32_e32 v2, v2, v3
	s_delay_alu instid0(VALU_DEP_1) | instskip(NEXT) | instid1(VALU_DEP_1)
	v_and_b32_e32 v3, 0x7f800000, v2
	v_cmp_ne_u32_e32 vcc_lo, 0x7f800000, v3
                                        ; implicit-def: $vgpr3
	s_and_saveexec_b32 s0, vcc_lo
	s_delay_alu instid0(SALU_CYCLE_1)
	s_xor_b32 s0, exec_lo, s0
; %bb.6:
	v_bfe_u32 v3, v2, 16, 1
	s_delay_alu instid0(VALU_DEP_1)
	v_add3_u32 v3, v2, v3, 0x7fff
                                        ; implicit-def: $vgpr2
; %bb.7:
	s_and_not1_saveexec_b32 s0, s0
; %bb.8:
	v_and_b32_e32 v3, 0xffff, v2
	v_or_b32_e32 v4, 0x10000, v2
	s_delay_alu instid0(VALU_DEP_2) | instskip(NEXT) | instid1(VALU_DEP_2)
	v_cmp_eq_u32_e32 vcc_lo, 0, v3
	v_cndmask_b32_e32 v3, v4, v2, vcc_lo
; %bb.9:
	s_or_b32 exec_lo, exec_lo, s0
	global_store_d16_hi_b16 v[0:1], v3, off
.LBB138_10:
	s_nop 0
	s_sendmsg sendmsg(MSG_DEALLOC_VGPRS)
	s_endpgm
	.section	.rodata,"a",@progbits
	.p2align	6, 0x0
	.amdhsa_kernel _ZL19rocblas_axpy_kernelIiLi256EfPKfPK16rocblas_bfloat16PS2_EviT2_lT3_lT_lT4_lS8_li
		.amdhsa_group_segment_fixed_size 0
		.amdhsa_private_segment_fixed_size 0
		.amdhsa_kernarg_size 92
		.amdhsa_user_sgpr_count 14
		.amdhsa_user_sgpr_dispatch_ptr 0
		.amdhsa_user_sgpr_queue_ptr 0
		.amdhsa_user_sgpr_kernarg_segment_ptr 1
		.amdhsa_user_sgpr_dispatch_id 0
		.amdhsa_user_sgpr_private_segment_size 0
		.amdhsa_wavefront_size32 1
		.amdhsa_uses_dynamic_stack 0
		.amdhsa_enable_private_segment 0
		.amdhsa_system_sgpr_workgroup_id_x 1
		.amdhsa_system_sgpr_workgroup_id_y 0
		.amdhsa_system_sgpr_workgroup_id_z 1
		.amdhsa_system_sgpr_workgroup_info 0
		.amdhsa_system_vgpr_workitem_id 0
		.amdhsa_next_free_vgpr 7
		.amdhsa_next_free_sgpr 16
		.amdhsa_reserve_vcc 1
		.amdhsa_float_round_mode_32 0
		.amdhsa_float_round_mode_16_64 0
		.amdhsa_float_denorm_mode_32 3
		.amdhsa_float_denorm_mode_16_64 3
		.amdhsa_dx10_clamp 1
		.amdhsa_ieee_mode 1
		.amdhsa_fp16_overflow 0
		.amdhsa_workgroup_processor_mode 1
		.amdhsa_memory_ordered 1
		.amdhsa_forward_progress 0
		.amdhsa_shared_vgpr_count 0
		.amdhsa_exception_fp_ieee_invalid_op 0
		.amdhsa_exception_fp_denorm_src 0
		.amdhsa_exception_fp_ieee_div_zero 0
		.amdhsa_exception_fp_ieee_overflow 0
		.amdhsa_exception_fp_ieee_underflow 0
		.amdhsa_exception_fp_ieee_inexact 0
		.amdhsa_exception_int_div_zero 0
	.end_amdhsa_kernel
	.section	.text._ZL19rocblas_axpy_kernelIiLi256EfPKfPK16rocblas_bfloat16PS2_EviT2_lT3_lT_lT4_lS8_li,"axG",@progbits,_ZL19rocblas_axpy_kernelIiLi256EfPKfPK16rocblas_bfloat16PS2_EviT2_lT3_lT_lT4_lS8_li,comdat
.Lfunc_end138:
	.size	_ZL19rocblas_axpy_kernelIiLi256EfPKfPK16rocblas_bfloat16PS2_EviT2_lT3_lT_lT4_lS8_li, .Lfunc_end138-_ZL19rocblas_axpy_kernelIiLi256EfPKfPK16rocblas_bfloat16PS2_EviT2_lT3_lT_lT4_lS8_li
                                        ; -- End function
	.section	.AMDGPU.csdata,"",@progbits
; Kernel info:
; codeLenInByte = 608
; NumSgprs: 18
; NumVgprs: 7
; ScratchSize: 0
; MemoryBound: 0
; FloatMode: 240
; IeeeMode: 1
; LDSByteSize: 0 bytes/workgroup (compile time only)
; SGPRBlocks: 2
; VGPRBlocks: 0
; NumSGPRsForWavesPerEU: 18
; NumVGPRsForWavesPerEU: 7
; Occupancy: 16
; WaveLimiterHint : 0
; COMPUTE_PGM_RSRC2:SCRATCH_EN: 0
; COMPUTE_PGM_RSRC2:USER_SGPR: 14
; COMPUTE_PGM_RSRC2:TRAP_HANDLER: 0
; COMPUTE_PGM_RSRC2:TGID_X_EN: 1
; COMPUTE_PGM_RSRC2:TGID_Y_EN: 0
; COMPUTE_PGM_RSRC2:TGID_Z_EN: 1
; COMPUTE_PGM_RSRC2:TIDIG_COMP_CNT: 0
	.section	.text._ZL19rocblas_axpy_kernelIiLi256EffPK16rocblas_bfloat16PS0_EviT2_lT3_lT_lT4_lS6_li,"axG",@progbits,_ZL19rocblas_axpy_kernelIiLi256EffPK16rocblas_bfloat16PS0_EviT2_lT3_lT_lT4_lS6_li,comdat
	.globl	_ZL19rocblas_axpy_kernelIiLi256EffPK16rocblas_bfloat16PS0_EviT2_lT3_lT_lT4_lS6_li ; -- Begin function _ZL19rocblas_axpy_kernelIiLi256EffPK16rocblas_bfloat16PS0_EviT2_lT3_lT_lT4_lS6_li
	.p2align	8
	.type	_ZL19rocblas_axpy_kernelIiLi256EffPK16rocblas_bfloat16PS0_EviT2_lT3_lT_lT4_lS6_li,@function
_ZL19rocblas_axpy_kernelIiLi256EffPK16rocblas_bfloat16PS0_EviT2_lT3_lT_lT4_lS6_li: ; @_ZL19rocblas_axpy_kernelIiLi256EffPK16rocblas_bfloat16PS0_EviT2_lT3_lT_lT4_lS6_li
; %bb.0:
	s_load_b64 s[2:3], s[0:1], 0x0
	v_mov_b32_e32 v1, 0
	v_lshl_or_b32 v0, s14, 8, v0
	s_waitcnt lgkmcnt(0)
	s_ashr_i32 s5, s2, 31
	s_mov_b32 s4, s2
	v_cmp_neq_f32_e64 s2, s3, 0
	v_cmp_gt_i64_e32 vcc_lo, s[4:5], v[0:1]
	s_delay_alu instid0(VALU_DEP_2) | instskip(NEXT) | instid1(SALU_CYCLE_1)
	s_and_b32 s2, s2, vcc_lo
	s_and_saveexec_b32 s4, s2
	s_cbranch_execz .LBB139_10
; %bb.1:
	s_clause 0x5
	s_load_b32 s2, s[0:1], 0x20
	s_load_b128 s[4:7], s[0:1], 0x28
	s_load_b32 s14, s[0:1], 0x40
	s_load_b128 s[8:11], s[0:1], 0x10
	s_load_b64 s[12:13], s[0:1], 0x38
	s_load_b64 s[0:1], s[0:1], 0x48
	s_waitcnt lgkmcnt(0)
	v_mad_u64_u32 v[1:2], null, s2, v0, 0
	s_ashr_i32 s2, s2, 31
	s_mul_i32 s5, s15, s5
	s_mul_i32 s1, s15, s1
	s_delay_alu instid0(VALU_DEP_1)
	v_mad_u64_u32 v[3:4], null, s2, v0, v[2:3]
	v_mad_u64_u32 v[4:5], null, s14, v0, 0
	s_mul_hi_u32 s2, s15, s4
	s_mul_i32 s4, s15, s4
	s_add_i32 s5, s2, s5
	s_ashr_i32 s2, s14, 31
	s_delay_alu instid0(VALU_DEP_2) | instskip(SKIP_1) | instid1(VALU_DEP_2)
	v_mov_b32_e32 v2, v3
	s_lshl_b64 s[4:5], s[4:5], 1
	v_mov_b32_e32 v3, v5
	s_add_u32 s8, s8, s4
	s_addc_u32 s9, s9, s5
	v_lshlrev_b64 v[1:2], 1, v[1:2]
	s_lshl_b64 s[4:5], s[10:11], 1
	v_mad_u64_u32 v[5:6], null, s2, v0, v[3:4]
	s_add_u32 s4, s4, s8
	s_addc_u32 s5, s5, s9
	s_delay_alu instid0(VALU_DEP_2)
	v_add_co_u32 v0, vcc_lo, s4, v1
	v_add_co_ci_u32_e32 v1, vcc_lo, s5, v2, vcc_lo
	s_mul_hi_u32 s2, s15, s0
	s_mul_i32 s0, s15, s0
	s_add_i32 s1, s2, s1
	global_load_u16 v3, v[0:1], off
	s_lshl_b64 s[0:1], s[0:1], 1
	v_lshlrev_b64 v[0:1], 1, v[4:5]
	s_add_u32 s2, s6, s0
	s_addc_u32 s4, s7, s1
	s_lshl_b64 s[0:1], s[12:13], 1
	s_delay_alu instid0(SALU_CYCLE_1)
	s_add_u32 s0, s0, s2
	s_addc_u32 s1, s1, s4
	v_add_co_u32 v0, vcc_lo, s0, v0
	v_add_co_ci_u32_e32 v1, vcc_lo, s1, v1, vcc_lo
	global_load_u16 v2, v[0:1], off
	s_waitcnt vmcnt(1)
	v_lshlrev_b32_e32 v3, 16, v3
	s_delay_alu instid0(VALU_DEP_1) | instskip(NEXT) | instid1(VALU_DEP_1)
	v_mul_f32_e32 v3, s3, v3
	v_and_b32_e32 v4, 0x7f800000, v3
	s_delay_alu instid0(VALU_DEP_1) | instskip(SKIP_1) | instid1(SALU_CYCLE_1)
	v_cmp_ne_u32_e32 vcc_lo, 0x7f800000, v4
                                        ; implicit-def: $vgpr4
	s_and_saveexec_b32 s0, vcc_lo
	s_xor_b32 s0, exec_lo, s0
; %bb.2:
	v_bfe_u32 v4, v3, 16, 1
	s_delay_alu instid0(VALU_DEP_1)
	v_add3_u32 v4, v3, v4, 0x7fff
                                        ; implicit-def: $vgpr3
; %bb.3:
	s_and_not1_saveexec_b32 s0, s0
; %bb.4:
	v_and_b32_e32 v4, 0xffff, v3
	v_or_b32_e32 v5, 0x10000, v3
	s_delay_alu instid0(VALU_DEP_2) | instskip(NEXT) | instid1(VALU_DEP_2)
	v_cmp_eq_u32_e32 vcc_lo, 0, v4
	v_cndmask_b32_e32 v4, v5, v3, vcc_lo
; %bb.5:
	s_or_b32 exec_lo, exec_lo, s0
	s_delay_alu instid0(VALU_DEP_1) | instskip(SKIP_2) | instid1(VALU_DEP_1)
	v_and_b32_e32 v3, 0xffff0000, v4
	s_waitcnt vmcnt(0)
	v_lshlrev_b32_e32 v2, 16, v2
	v_add_f32_e32 v2, v2, v3
	s_delay_alu instid0(VALU_DEP_1) | instskip(NEXT) | instid1(VALU_DEP_1)
	v_and_b32_e32 v3, 0x7f800000, v2
	v_cmp_ne_u32_e32 vcc_lo, 0x7f800000, v3
                                        ; implicit-def: $vgpr3
	s_and_saveexec_b32 s0, vcc_lo
	s_delay_alu instid0(SALU_CYCLE_1)
	s_xor_b32 s0, exec_lo, s0
; %bb.6:
	v_bfe_u32 v3, v2, 16, 1
	s_delay_alu instid0(VALU_DEP_1)
	v_add3_u32 v3, v2, v3, 0x7fff
                                        ; implicit-def: $vgpr2
; %bb.7:
	s_and_not1_saveexec_b32 s0, s0
; %bb.8:
	v_and_b32_e32 v3, 0xffff, v2
	v_or_b32_e32 v4, 0x10000, v2
	s_delay_alu instid0(VALU_DEP_2) | instskip(NEXT) | instid1(VALU_DEP_2)
	v_cmp_eq_u32_e32 vcc_lo, 0, v3
	v_cndmask_b32_e32 v3, v4, v2, vcc_lo
; %bb.9:
	s_or_b32 exec_lo, exec_lo, s0
	global_store_d16_hi_b16 v[0:1], v3, off
.LBB139_10:
	s_nop 0
	s_sendmsg sendmsg(MSG_DEALLOC_VGPRS)
	s_endpgm
	.section	.rodata,"a",@progbits
	.p2align	6, 0x0
	.amdhsa_kernel _ZL19rocblas_axpy_kernelIiLi256EffPK16rocblas_bfloat16PS0_EviT2_lT3_lT_lT4_lS6_li
		.amdhsa_group_segment_fixed_size 0
		.amdhsa_private_segment_fixed_size 0
		.amdhsa_kernarg_size 84
		.amdhsa_user_sgpr_count 14
		.amdhsa_user_sgpr_dispatch_ptr 0
		.amdhsa_user_sgpr_queue_ptr 0
		.amdhsa_user_sgpr_kernarg_segment_ptr 1
		.amdhsa_user_sgpr_dispatch_id 0
		.amdhsa_user_sgpr_private_segment_size 0
		.amdhsa_wavefront_size32 1
		.amdhsa_uses_dynamic_stack 0
		.amdhsa_enable_private_segment 0
		.amdhsa_system_sgpr_workgroup_id_x 1
		.amdhsa_system_sgpr_workgroup_id_y 0
		.amdhsa_system_sgpr_workgroup_id_z 1
		.amdhsa_system_sgpr_workgroup_info 0
		.amdhsa_system_vgpr_workitem_id 0
		.amdhsa_next_free_vgpr 7
		.amdhsa_next_free_sgpr 16
		.amdhsa_reserve_vcc 1
		.amdhsa_float_round_mode_32 0
		.amdhsa_float_round_mode_16_64 0
		.amdhsa_float_denorm_mode_32 3
		.amdhsa_float_denorm_mode_16_64 3
		.amdhsa_dx10_clamp 1
		.amdhsa_ieee_mode 1
		.amdhsa_fp16_overflow 0
		.amdhsa_workgroup_processor_mode 1
		.amdhsa_memory_ordered 1
		.amdhsa_forward_progress 0
		.amdhsa_shared_vgpr_count 0
		.amdhsa_exception_fp_ieee_invalid_op 0
		.amdhsa_exception_fp_denorm_src 0
		.amdhsa_exception_fp_ieee_div_zero 0
		.amdhsa_exception_fp_ieee_overflow 0
		.amdhsa_exception_fp_ieee_underflow 0
		.amdhsa_exception_fp_ieee_inexact 0
		.amdhsa_exception_int_div_zero 0
	.end_amdhsa_kernel
	.section	.text._ZL19rocblas_axpy_kernelIiLi256EffPK16rocblas_bfloat16PS0_EviT2_lT3_lT_lT4_lS6_li,"axG",@progbits,_ZL19rocblas_axpy_kernelIiLi256EffPK16rocblas_bfloat16PS0_EviT2_lT3_lT_lT4_lS6_li,comdat
.Lfunc_end139:
	.size	_ZL19rocblas_axpy_kernelIiLi256EffPK16rocblas_bfloat16PS0_EviT2_lT3_lT_lT4_lS6_li, .Lfunc_end139-_ZL19rocblas_axpy_kernelIiLi256EffPK16rocblas_bfloat16PS0_EviT2_lT3_lT_lT4_lS6_li
                                        ; -- End function
	.section	.AMDGPU.csdata,"",@progbits
; Kernel info:
; codeLenInByte = 556
; NumSgprs: 18
; NumVgprs: 7
; ScratchSize: 0
; MemoryBound: 0
; FloatMode: 240
; IeeeMode: 1
; LDSByteSize: 0 bytes/workgroup (compile time only)
; SGPRBlocks: 2
; VGPRBlocks: 0
; NumSGPRsForWavesPerEU: 18
; NumVGPRsForWavesPerEU: 7
; Occupancy: 16
; WaveLimiterHint : 0
; COMPUTE_PGM_RSRC2:SCRATCH_EN: 0
; COMPUTE_PGM_RSRC2:USER_SGPR: 14
; COMPUTE_PGM_RSRC2:TRAP_HANDLER: 0
; COMPUTE_PGM_RSRC2:TGID_X_EN: 1
; COMPUTE_PGM_RSRC2:TGID_Y_EN: 0
; COMPUTE_PGM_RSRC2:TGID_Z_EN: 1
; COMPUTE_PGM_RSRC2:TIDIG_COMP_CNT: 0
	.section	.text._ZL19rocblas_axpy_kernelIlLi256EfPKfPK16rocblas_bfloat16PS2_EviT2_lT3_lT_lT4_lS8_li,"axG",@progbits,_ZL19rocblas_axpy_kernelIlLi256EfPKfPK16rocblas_bfloat16PS2_EviT2_lT3_lT_lT4_lS8_li,comdat
	.globl	_ZL19rocblas_axpy_kernelIlLi256EfPKfPK16rocblas_bfloat16PS2_EviT2_lT3_lT_lT4_lS8_li ; -- Begin function _ZL19rocblas_axpy_kernelIlLi256EfPKfPK16rocblas_bfloat16PS2_EviT2_lT3_lT_lT4_lS8_li
	.p2align	8
	.type	_ZL19rocblas_axpy_kernelIlLi256EfPKfPK16rocblas_bfloat16PS2_EviT2_lT3_lT_lT4_lS8_li,@function
_ZL19rocblas_axpy_kernelIlLi256EfPKfPK16rocblas_bfloat16PS2_EviT2_lT3_lT_lT4_lS8_li: ; @_ZL19rocblas_axpy_kernelIlLi256EfPKfPK16rocblas_bfloat16PS2_EviT2_lT3_lT_lT4_lS8_li
; %bb.0:
	s_clause 0x1
	s_load_b128 s[4:7], s[0:1], 0x8
	s_load_b32 s8, s[0:1], 0x0
	v_lshl_or_b32 v0, s14, 8, v0
	v_mov_b32_e32 v1, 0
	s_waitcnt lgkmcnt(0)
	s_mul_i32 s2, s15, s7
	s_mul_hi_u32 s3, s15, s6
	s_ashr_i32 s9, s8, 31
	s_add_i32 s3, s3, s2
	s_mul_i32 s2, s15, s6
	v_cmp_gt_i64_e32 vcc_lo, s[8:9], v[0:1]
	s_lshl_b64 s[2:3], s[2:3], 2
	s_delay_alu instid0(SALU_CYCLE_1) | instskip(SKIP_4) | instid1(VALU_DEP_1)
	s_add_u32 s2, s4, s2
	s_addc_u32 s3, s5, s3
	s_load_b32 s2, s[2:3], 0x0
	s_waitcnt lgkmcnt(0)
	v_cmp_neq_f32_e64 s3, s2, 0
	s_and_b32 s3, vcc_lo, s3
	s_delay_alu instid0(SALU_CYCLE_1)
	s_and_saveexec_b32 s4, s3
	s_cbranch_execz .LBB140_10
; %bb.1:
	s_clause 0x3
	s_load_b128 s[16:19], s[0:1], 0x20
	s_load_b256 s[4:11], s[0:1], 0x30
	s_load_b64 s[12:13], s[0:1], 0x18
	s_load_b64 s[0:1], s[0:1], 0x50
	s_waitcnt lgkmcnt(0)
	v_mad_u64_u32 v[1:2], null, v0, s18, 0
	s_mul_i32 s3, s15, s5
	s_mul_hi_u32 s5, s15, s4
	s_mul_i32 s4, s15, s4
	s_add_i32 s5, s5, s3
	s_mul_i32 s1, s15, s1
	s_lshl_b64 s[4:5], s[4:5], 1
	s_delay_alu instid0(VALU_DEP_1) | instskip(SKIP_4) | instid1(SALU_CYCLE_1)
	v_mad_u64_u32 v[3:4], null, v0, s19, v[2:3]
	v_mad_u64_u32 v[4:5], null, v0, s10, 0
	s_add_u32 s3, s12, s4
	s_addc_u32 s10, s13, s5
	s_lshl_b64 s[4:5], s[16:17], 1
	s_add_u32 s3, s4, s3
	s_delay_alu instid0(VALU_DEP_1) | instskip(SKIP_1) | instid1(VALU_DEP_1)
	v_dual_mov_b32 v2, v3 :: v_dual_mov_b32 v3, v5
	s_addc_u32 s4, s5, s10
	v_lshlrev_b64 v[1:2], 1, v[1:2]
	s_delay_alu instid0(VALU_DEP_2) | instskip(NEXT) | instid1(VALU_DEP_2)
	v_mad_u64_u32 v[5:6], null, v0, s11, v[3:4]
	v_add_co_u32 v0, vcc_lo, s3, v1
	s_delay_alu instid0(VALU_DEP_3)
	v_add_co_ci_u32_e32 v1, vcc_lo, s4, v2, vcc_lo
	s_mul_hi_u32 s3, s15, s0
	s_mul_i32 s0, s15, s0
	s_add_i32 s1, s3, s1
	global_load_u16 v3, v[0:1], off
	s_lshl_b64 s[0:1], s[0:1], 1
	v_lshlrev_b64 v[0:1], 1, v[4:5]
	s_add_u32 s3, s6, s0
	s_addc_u32 s4, s7, s1
	s_lshl_b64 s[0:1], s[8:9], 1
	s_delay_alu instid0(SALU_CYCLE_1)
	s_add_u32 s0, s0, s3
	s_addc_u32 s1, s1, s4
	v_add_co_u32 v0, vcc_lo, s0, v0
	v_add_co_ci_u32_e32 v1, vcc_lo, s1, v1, vcc_lo
	global_load_u16 v2, v[0:1], off
	s_waitcnt vmcnt(1)
	v_lshlrev_b32_e32 v3, 16, v3
	s_delay_alu instid0(VALU_DEP_1) | instskip(NEXT) | instid1(VALU_DEP_1)
	v_mul_f32_e32 v3, s2, v3
	v_and_b32_e32 v4, 0x7f800000, v3
	s_delay_alu instid0(VALU_DEP_1) | instskip(SKIP_1) | instid1(SALU_CYCLE_1)
	v_cmp_ne_u32_e32 vcc_lo, 0x7f800000, v4
                                        ; implicit-def: $vgpr4
	s_and_saveexec_b32 s0, vcc_lo
	s_xor_b32 s0, exec_lo, s0
; %bb.2:
	v_bfe_u32 v4, v3, 16, 1
	s_delay_alu instid0(VALU_DEP_1)
	v_add3_u32 v4, v3, v4, 0x7fff
                                        ; implicit-def: $vgpr3
; %bb.3:
	s_and_not1_saveexec_b32 s0, s0
; %bb.4:
	v_and_b32_e32 v4, 0xffff, v3
	v_or_b32_e32 v5, 0x10000, v3
	s_delay_alu instid0(VALU_DEP_2) | instskip(NEXT) | instid1(VALU_DEP_2)
	v_cmp_eq_u32_e32 vcc_lo, 0, v4
	v_cndmask_b32_e32 v4, v5, v3, vcc_lo
; %bb.5:
	s_or_b32 exec_lo, exec_lo, s0
	s_delay_alu instid0(VALU_DEP_1) | instskip(SKIP_2) | instid1(VALU_DEP_1)
	v_and_b32_e32 v3, 0xffff0000, v4
	s_waitcnt vmcnt(0)
	v_lshlrev_b32_e32 v2, 16, v2
	v_add_f32_e32 v2, v2, v3
	s_delay_alu instid0(VALU_DEP_1) | instskip(NEXT) | instid1(VALU_DEP_1)
	v_and_b32_e32 v3, 0x7f800000, v2
	v_cmp_ne_u32_e32 vcc_lo, 0x7f800000, v3
                                        ; implicit-def: $vgpr3
	s_and_saveexec_b32 s0, vcc_lo
	s_delay_alu instid0(SALU_CYCLE_1)
	s_xor_b32 s0, exec_lo, s0
; %bb.6:
	v_bfe_u32 v3, v2, 16, 1
	s_delay_alu instid0(VALU_DEP_1)
	v_add3_u32 v3, v2, v3, 0x7fff
                                        ; implicit-def: $vgpr2
; %bb.7:
	s_and_not1_saveexec_b32 s0, s0
; %bb.8:
	v_and_b32_e32 v3, 0xffff, v2
	v_or_b32_e32 v4, 0x10000, v2
	s_delay_alu instid0(VALU_DEP_2) | instskip(NEXT) | instid1(VALU_DEP_2)
	v_cmp_eq_u32_e32 vcc_lo, 0, v3
	v_cndmask_b32_e32 v3, v4, v2, vcc_lo
; %bb.9:
	s_or_b32 exec_lo, exec_lo, s0
	global_store_d16_hi_b16 v[0:1], v3, off
.LBB140_10:
	s_nop 0
	s_sendmsg sendmsg(MSG_DEALLOC_VGPRS)
	s_endpgm
	.section	.rodata,"a",@progbits
	.p2align	6, 0x0
	.amdhsa_kernel _ZL19rocblas_axpy_kernelIlLi256EfPKfPK16rocblas_bfloat16PS2_EviT2_lT3_lT_lT4_lS8_li
		.amdhsa_group_segment_fixed_size 0
		.amdhsa_private_segment_fixed_size 0
		.amdhsa_kernarg_size 92
		.amdhsa_user_sgpr_count 14
		.amdhsa_user_sgpr_dispatch_ptr 0
		.amdhsa_user_sgpr_queue_ptr 0
		.amdhsa_user_sgpr_kernarg_segment_ptr 1
		.amdhsa_user_sgpr_dispatch_id 0
		.amdhsa_user_sgpr_private_segment_size 0
		.amdhsa_wavefront_size32 1
		.amdhsa_uses_dynamic_stack 0
		.amdhsa_enable_private_segment 0
		.amdhsa_system_sgpr_workgroup_id_x 1
		.amdhsa_system_sgpr_workgroup_id_y 0
		.amdhsa_system_sgpr_workgroup_id_z 1
		.amdhsa_system_sgpr_workgroup_info 0
		.amdhsa_system_vgpr_workitem_id 0
		.amdhsa_next_free_vgpr 7
		.amdhsa_next_free_sgpr 20
		.amdhsa_reserve_vcc 1
		.amdhsa_float_round_mode_32 0
		.amdhsa_float_round_mode_16_64 0
		.amdhsa_float_denorm_mode_32 3
		.amdhsa_float_denorm_mode_16_64 3
		.amdhsa_dx10_clamp 1
		.amdhsa_ieee_mode 1
		.amdhsa_fp16_overflow 0
		.amdhsa_workgroup_processor_mode 1
		.amdhsa_memory_ordered 1
		.amdhsa_forward_progress 0
		.amdhsa_shared_vgpr_count 0
		.amdhsa_exception_fp_ieee_invalid_op 0
		.amdhsa_exception_fp_denorm_src 0
		.amdhsa_exception_fp_ieee_div_zero 0
		.amdhsa_exception_fp_ieee_overflow 0
		.amdhsa_exception_fp_ieee_underflow 0
		.amdhsa_exception_fp_ieee_inexact 0
		.amdhsa_exception_int_div_zero 0
	.end_amdhsa_kernel
	.section	.text._ZL19rocblas_axpy_kernelIlLi256EfPKfPK16rocblas_bfloat16PS2_EviT2_lT3_lT_lT4_lS8_li,"axG",@progbits,_ZL19rocblas_axpy_kernelIlLi256EfPKfPK16rocblas_bfloat16PS2_EviT2_lT3_lT_lT4_lS8_li,comdat
.Lfunc_end140:
	.size	_ZL19rocblas_axpy_kernelIlLi256EfPKfPK16rocblas_bfloat16PS2_EviT2_lT3_lT_lT4_lS8_li, .Lfunc_end140-_ZL19rocblas_axpy_kernelIlLi256EfPKfPK16rocblas_bfloat16PS2_EviT2_lT3_lT_lT4_lS8_li
                                        ; -- End function
	.section	.AMDGPU.csdata,"",@progbits
; Kernel info:
; codeLenInByte = 588
; NumSgprs: 22
; NumVgprs: 7
; ScratchSize: 0
; MemoryBound: 0
; FloatMode: 240
; IeeeMode: 1
; LDSByteSize: 0 bytes/workgroup (compile time only)
; SGPRBlocks: 2
; VGPRBlocks: 0
; NumSGPRsForWavesPerEU: 22
; NumVGPRsForWavesPerEU: 7
; Occupancy: 16
; WaveLimiterHint : 0
; COMPUTE_PGM_RSRC2:SCRATCH_EN: 0
; COMPUTE_PGM_RSRC2:USER_SGPR: 14
; COMPUTE_PGM_RSRC2:TRAP_HANDLER: 0
; COMPUTE_PGM_RSRC2:TGID_X_EN: 1
; COMPUTE_PGM_RSRC2:TGID_Y_EN: 0
; COMPUTE_PGM_RSRC2:TGID_Z_EN: 1
; COMPUTE_PGM_RSRC2:TIDIG_COMP_CNT: 0
	.section	.text._ZL19rocblas_axpy_kernelIlLi256EffPK16rocblas_bfloat16PS0_EviT2_lT3_lT_lT4_lS6_li,"axG",@progbits,_ZL19rocblas_axpy_kernelIlLi256EffPK16rocblas_bfloat16PS0_EviT2_lT3_lT_lT4_lS6_li,comdat
	.globl	_ZL19rocblas_axpy_kernelIlLi256EffPK16rocblas_bfloat16PS0_EviT2_lT3_lT_lT4_lS6_li ; -- Begin function _ZL19rocblas_axpy_kernelIlLi256EffPK16rocblas_bfloat16PS0_EviT2_lT3_lT_lT4_lS6_li
	.p2align	8
	.type	_ZL19rocblas_axpy_kernelIlLi256EffPK16rocblas_bfloat16PS0_EviT2_lT3_lT_lT4_lS6_li,@function
_ZL19rocblas_axpy_kernelIlLi256EffPK16rocblas_bfloat16PS0_EviT2_lT3_lT_lT4_lS6_li: ; @_ZL19rocblas_axpy_kernelIlLi256EffPK16rocblas_bfloat16PS0_EviT2_lT3_lT_lT4_lS6_li
; %bb.0:
	s_load_b64 s[2:3], s[0:1], 0x0
	v_mov_b32_e32 v1, 0
	v_lshl_or_b32 v0, s14, 8, v0
	s_waitcnt lgkmcnt(0)
	s_ashr_i32 s5, s2, 31
	s_mov_b32 s4, s2
	v_cmp_neq_f32_e64 s2, s3, 0
	v_cmp_gt_i64_e32 vcc_lo, s[4:5], v[0:1]
	s_delay_alu instid0(VALU_DEP_2) | instskip(NEXT) | instid1(SALU_CYCLE_1)
	s_and_b32 s2, s2, vcc_lo
	s_and_saveexec_b32 s4, s2
	s_cbranch_execz .LBB141_10
; %bb.1:
	s_clause 0x3
	s_load_b128 s[16:19], s[0:1], 0x18
	s_load_b256 s[4:11], s[0:1], 0x28
	s_load_b64 s[12:13], s[0:1], 0x10
	s_load_b64 s[0:1], s[0:1], 0x48
	s_waitcnt lgkmcnt(0)
	v_mad_u64_u32 v[1:2], null, v0, s18, 0
	s_mul_i32 s2, s15, s5
	s_mul_hi_u32 s5, s15, s4
	s_mul_i32 s4, s15, s4
	s_add_i32 s5, s5, s2
	s_mul_i32 s1, s15, s1
	s_lshl_b64 s[4:5], s[4:5], 1
	s_delay_alu instid0(VALU_DEP_1) | instskip(SKIP_4) | instid1(SALU_CYCLE_1)
	v_mad_u64_u32 v[3:4], null, v0, s19, v[2:3]
	v_mad_u64_u32 v[4:5], null, v0, s10, 0
	s_add_u32 s2, s12, s4
	s_addc_u32 s10, s13, s5
	s_lshl_b64 s[4:5], s[16:17], 1
	s_add_u32 s2, s4, s2
	s_delay_alu instid0(VALU_DEP_1) | instskip(SKIP_1) | instid1(VALU_DEP_1)
	v_dual_mov_b32 v2, v3 :: v_dual_mov_b32 v3, v5
	s_addc_u32 s4, s5, s10
	v_lshlrev_b64 v[1:2], 1, v[1:2]
	s_delay_alu instid0(VALU_DEP_2) | instskip(NEXT) | instid1(VALU_DEP_2)
	v_mad_u64_u32 v[5:6], null, v0, s11, v[3:4]
	v_add_co_u32 v0, vcc_lo, s2, v1
	s_delay_alu instid0(VALU_DEP_3)
	v_add_co_ci_u32_e32 v1, vcc_lo, s4, v2, vcc_lo
	s_mul_hi_u32 s2, s15, s0
	s_mul_i32 s0, s15, s0
	s_add_i32 s1, s2, s1
	global_load_u16 v3, v[0:1], off
	s_lshl_b64 s[0:1], s[0:1], 1
	v_lshlrev_b64 v[0:1], 1, v[4:5]
	s_add_u32 s2, s6, s0
	s_addc_u32 s4, s7, s1
	s_lshl_b64 s[0:1], s[8:9], 1
	s_delay_alu instid0(SALU_CYCLE_1)
	s_add_u32 s0, s0, s2
	s_addc_u32 s1, s1, s4
	v_add_co_u32 v0, vcc_lo, s0, v0
	v_add_co_ci_u32_e32 v1, vcc_lo, s1, v1, vcc_lo
	global_load_u16 v2, v[0:1], off
	s_waitcnt vmcnt(1)
	v_lshlrev_b32_e32 v3, 16, v3
	s_delay_alu instid0(VALU_DEP_1) | instskip(NEXT) | instid1(VALU_DEP_1)
	v_mul_f32_e32 v3, s3, v3
	v_and_b32_e32 v4, 0x7f800000, v3
	s_delay_alu instid0(VALU_DEP_1) | instskip(SKIP_1) | instid1(SALU_CYCLE_1)
	v_cmp_ne_u32_e32 vcc_lo, 0x7f800000, v4
                                        ; implicit-def: $vgpr4
	s_and_saveexec_b32 s0, vcc_lo
	s_xor_b32 s0, exec_lo, s0
; %bb.2:
	v_bfe_u32 v4, v3, 16, 1
	s_delay_alu instid0(VALU_DEP_1)
	v_add3_u32 v4, v3, v4, 0x7fff
                                        ; implicit-def: $vgpr3
; %bb.3:
	s_and_not1_saveexec_b32 s0, s0
; %bb.4:
	v_and_b32_e32 v4, 0xffff, v3
	v_or_b32_e32 v5, 0x10000, v3
	s_delay_alu instid0(VALU_DEP_2) | instskip(NEXT) | instid1(VALU_DEP_2)
	v_cmp_eq_u32_e32 vcc_lo, 0, v4
	v_cndmask_b32_e32 v4, v5, v3, vcc_lo
; %bb.5:
	s_or_b32 exec_lo, exec_lo, s0
	s_delay_alu instid0(VALU_DEP_1) | instskip(SKIP_2) | instid1(VALU_DEP_1)
	v_and_b32_e32 v3, 0xffff0000, v4
	s_waitcnt vmcnt(0)
	v_lshlrev_b32_e32 v2, 16, v2
	v_add_f32_e32 v2, v2, v3
	s_delay_alu instid0(VALU_DEP_1) | instskip(NEXT) | instid1(VALU_DEP_1)
	v_and_b32_e32 v3, 0x7f800000, v2
	v_cmp_ne_u32_e32 vcc_lo, 0x7f800000, v3
                                        ; implicit-def: $vgpr3
	s_and_saveexec_b32 s0, vcc_lo
	s_delay_alu instid0(SALU_CYCLE_1)
	s_xor_b32 s0, exec_lo, s0
; %bb.6:
	v_bfe_u32 v3, v2, 16, 1
	s_delay_alu instid0(VALU_DEP_1)
	v_add3_u32 v3, v2, v3, 0x7fff
                                        ; implicit-def: $vgpr2
; %bb.7:
	s_and_not1_saveexec_b32 s0, s0
; %bb.8:
	v_and_b32_e32 v3, 0xffff, v2
	v_or_b32_e32 v4, 0x10000, v2
	s_delay_alu instid0(VALU_DEP_2) | instskip(NEXT) | instid1(VALU_DEP_2)
	v_cmp_eq_u32_e32 vcc_lo, 0, v3
	v_cndmask_b32_e32 v3, v4, v2, vcc_lo
; %bb.9:
	s_or_b32 exec_lo, exec_lo, s0
	global_store_d16_hi_b16 v[0:1], v3, off
.LBB141_10:
	s_nop 0
	s_sendmsg sendmsg(MSG_DEALLOC_VGPRS)
	s_endpgm
	.section	.rodata,"a",@progbits
	.p2align	6, 0x0
	.amdhsa_kernel _ZL19rocblas_axpy_kernelIlLi256EffPK16rocblas_bfloat16PS0_EviT2_lT3_lT_lT4_lS6_li
		.amdhsa_group_segment_fixed_size 0
		.amdhsa_private_segment_fixed_size 0
		.amdhsa_kernarg_size 84
		.amdhsa_user_sgpr_count 14
		.amdhsa_user_sgpr_dispatch_ptr 0
		.amdhsa_user_sgpr_queue_ptr 0
		.amdhsa_user_sgpr_kernarg_segment_ptr 1
		.amdhsa_user_sgpr_dispatch_id 0
		.amdhsa_user_sgpr_private_segment_size 0
		.amdhsa_wavefront_size32 1
		.amdhsa_uses_dynamic_stack 0
		.amdhsa_enable_private_segment 0
		.amdhsa_system_sgpr_workgroup_id_x 1
		.amdhsa_system_sgpr_workgroup_id_y 0
		.amdhsa_system_sgpr_workgroup_id_z 1
		.amdhsa_system_sgpr_workgroup_info 0
		.amdhsa_system_vgpr_workitem_id 0
		.amdhsa_next_free_vgpr 7
		.amdhsa_next_free_sgpr 20
		.amdhsa_reserve_vcc 1
		.amdhsa_float_round_mode_32 0
		.amdhsa_float_round_mode_16_64 0
		.amdhsa_float_denorm_mode_32 3
		.amdhsa_float_denorm_mode_16_64 3
		.amdhsa_dx10_clamp 1
		.amdhsa_ieee_mode 1
		.amdhsa_fp16_overflow 0
		.amdhsa_workgroup_processor_mode 1
		.amdhsa_memory_ordered 1
		.amdhsa_forward_progress 0
		.amdhsa_shared_vgpr_count 0
		.amdhsa_exception_fp_ieee_invalid_op 0
		.amdhsa_exception_fp_denorm_src 0
		.amdhsa_exception_fp_ieee_div_zero 0
		.amdhsa_exception_fp_ieee_overflow 0
		.amdhsa_exception_fp_ieee_underflow 0
		.amdhsa_exception_fp_ieee_inexact 0
		.amdhsa_exception_int_div_zero 0
	.end_amdhsa_kernel
	.section	.text._ZL19rocblas_axpy_kernelIlLi256EffPK16rocblas_bfloat16PS0_EviT2_lT3_lT_lT4_lS6_li,"axG",@progbits,_ZL19rocblas_axpy_kernelIlLi256EffPK16rocblas_bfloat16PS0_EviT2_lT3_lT_lT4_lS6_li,comdat
.Lfunc_end141:
	.size	_ZL19rocblas_axpy_kernelIlLi256EffPK16rocblas_bfloat16PS0_EviT2_lT3_lT_lT4_lS6_li, .Lfunc_end141-_ZL19rocblas_axpy_kernelIlLi256EffPK16rocblas_bfloat16PS0_EviT2_lT3_lT_lT4_lS6_li
                                        ; -- End function
	.section	.AMDGPU.csdata,"",@progbits
; Kernel info:
; codeLenInByte = 536
; NumSgprs: 22
; NumVgprs: 7
; ScratchSize: 0
; MemoryBound: 0
; FloatMode: 240
; IeeeMode: 1
; LDSByteSize: 0 bytes/workgroup (compile time only)
; SGPRBlocks: 2
; VGPRBlocks: 0
; NumSGPRsForWavesPerEU: 22
; NumVGPRsForWavesPerEU: 7
; Occupancy: 16
; WaveLimiterHint : 0
; COMPUTE_PGM_RSRC2:SCRATCH_EN: 0
; COMPUTE_PGM_RSRC2:USER_SGPR: 14
; COMPUTE_PGM_RSRC2:TRAP_HANDLER: 0
; COMPUTE_PGM_RSRC2:TGID_X_EN: 1
; COMPUTE_PGM_RSRC2:TGID_Y_EN: 0
; COMPUTE_PGM_RSRC2:TGID_Z_EN: 1
; COMPUTE_PGM_RSRC2:TIDIG_COMP_CNT: 0
	.section	.text._ZL22rocblas_saxpy_2_kernelILi256EfPKDF16_S1_PDF16_EviT1_lT2_llT3_lli,"axG",@progbits,_ZL22rocblas_saxpy_2_kernelILi256EfPKDF16_S1_PDF16_EviT1_lT2_llT3_lli,comdat
	.globl	_ZL22rocblas_saxpy_2_kernelILi256EfPKDF16_S1_PDF16_EviT1_lT2_llT3_lli ; -- Begin function _ZL22rocblas_saxpy_2_kernelILi256EfPKDF16_S1_PDF16_EviT1_lT2_llT3_lli
	.p2align	8
	.type	_ZL22rocblas_saxpy_2_kernelILi256EfPKDF16_S1_PDF16_EviT1_lT2_llT3_lli,@function
_ZL22rocblas_saxpy_2_kernelILi256EfPKDF16_S1_PDF16_EviT1_lT2_llT3_lli: ; @_ZL22rocblas_saxpy_2_kernelILi256EfPKDF16_S1_PDF16_EviT1_lT2_llT3_lli
; %bb.0:
	s_load_b128 s[4:7], s[0:1], 0x8
	v_mov_b32_e32 v1, 0
	s_waitcnt lgkmcnt(0)
	s_mul_i32 s3, s15, s7
	s_mul_hi_u32 s7, s15, s6
	s_mul_i32 s2, s15, s6
	s_add_i32 s3, s7, s3
	s_delay_alu instid0(SALU_CYCLE_1) | instskip(NEXT) | instid1(SALU_CYCLE_1)
	s_lshl_b64 s[2:3], s[2:3], 1
	s_add_u32 s2, s4, s2
	s_addc_u32 s3, s5, s3
	global_load_u16 v4, v1, s[2:3]
	s_waitcnt vmcnt(0)
	v_cmp_eq_f16_e32 vcc_lo, 0, v4
	s_cbranch_vccnz .LBB142_5
; %bb.1:
	s_clause 0x4
	s_load_b128 s[4:7], s[0:1], 0x20
	s_load_b128 s[8:11], s[0:1], 0x38
	s_load_b64 s[12:13], s[0:1], 0x18
	s_load_b64 s[16:17], s[0:1], 0x30
	s_load_b32 s2, s[0:1], 0x0
	v_lshlrev_b32_e32 v0, 1, v0
	s_delay_alu instid0(VALU_DEP_1) | instskip(NEXT) | instid1(VALU_DEP_1)
	v_lshl_or_b32 v0, s14, 9, v0
	v_lshlrev_b64 v[2:3], 1, v[0:1]
	s_waitcnt lgkmcnt(0)
	s_mul_i32 s1, s15, s7
	s_mul_hi_u32 s3, s15, s6
	s_mul_i32 s0, s15, s6
	s_add_i32 s1, s3, s1
	s_mul_i32 s7, s15, s11
	s_lshl_b64 s[0:1], s[0:1], 1
	s_mul_hi_u32 s11, s15, s10
	s_add_u32 s3, s12, s0
	s_addc_u32 s12, s13, s1
	s_lshl_b64 s[0:1], s[4:5], 1
	s_mul_i32 s6, s15, s10
	s_add_u32 s3, s3, s0
	s_addc_u32 s4, s12, s1
	s_add_i32 s7, s11, s7
	s_delay_alu instid0(SALU_CYCLE_1) | instskip(SKIP_4) | instid1(SALU_CYCLE_1)
	s_lshl_b64 s[0:1], s[6:7], 1
	s_mov_b32 s7, exec_lo
	s_add_u32 s5, s16, s0
	s_addc_u32 s6, s17, s1
	s_lshl_b64 s[0:1], s[8:9], 1
	s_add_u32 s5, s5, s0
	s_addc_u32 s6, s6, s1
	s_add_i32 s0, s2, -1
	s_delay_alu instid0(SALU_CYCLE_1) | instskip(NEXT) | instid1(SALU_CYCLE_1)
	s_ashr_i32 s1, s0, 31
	v_cmpx_gt_i64_e64 s[0:1], v[0:1]
	s_cbranch_execz .LBB142_3
; %bb.2:
	v_add_co_u32 v5, vcc_lo, s5, v2
	v_add_co_ci_u32_e32 v6, vcc_lo, s6, v3, vcc_lo
	v_add_co_u32 v7, vcc_lo, s3, v2
	v_add_co_ci_u32_e32 v8, vcc_lo, s4, v3, vcc_lo
	global_load_b32 v9, v[5:6], off
	global_load_b32 v7, v[7:8], off
	s_waitcnt vmcnt(0)
	v_fma_mixlo_f16 v8, v4, v7, v9 op_sel_hi:[1,1,1]
	s_delay_alu instid0(VALU_DEP_1)
	v_fma_mixhi_f16 v8, v4, v7, v9 op_sel:[0,1,1] op_sel_hi:[1,1,1]
	global_store_b32 v[5:6], v8, off
.LBB142_3:
	s_or_b32 exec_lo, exec_lo, s7
	v_cmp_eq_u64_e32 vcc_lo, s[0:1], v[0:1]
	s_bitcmp1_b32 s2, 0
	s_cselect_b32 s0, -1, 0
	s_delay_alu instid0(SALU_CYCLE_1) | instskip(NEXT) | instid1(SALU_CYCLE_1)
	s_and_b32 s0, s0, vcc_lo
	s_and_saveexec_b32 s1, s0
	s_cbranch_execz .LBB142_5
; %bb.4:
	v_add_co_u32 v0, vcc_lo, s5, v2
	v_add_co_ci_u32_e32 v1, vcc_lo, s6, v3, vcc_lo
	v_add_co_u32 v2, vcc_lo, s3, v2
	v_add_co_ci_u32_e32 v3, vcc_lo, s4, v3, vcc_lo
	global_load_u16 v5, v[0:1], off
	global_load_u16 v2, v[2:3], off
	s_waitcnt vmcnt(0)
	v_fma_mixlo_f16 v2, v4, v2, v5 op_sel_hi:[1,1,1]
	global_store_b16 v[0:1], v2, off
.LBB142_5:
	s_nop 0
	s_sendmsg sendmsg(MSG_DEALLOC_VGPRS)
	s_endpgm
	.section	.rodata,"a",@progbits
	.p2align	6, 0x0
	.amdhsa_kernel _ZL22rocblas_saxpy_2_kernelILi256EfPKDF16_S1_PDF16_EviT1_lT2_llT3_lli
		.amdhsa_group_segment_fixed_size 0
		.amdhsa_private_segment_fixed_size 0
		.amdhsa_kernarg_size 76
		.amdhsa_user_sgpr_count 14
		.amdhsa_user_sgpr_dispatch_ptr 0
		.amdhsa_user_sgpr_queue_ptr 0
		.amdhsa_user_sgpr_kernarg_segment_ptr 1
		.amdhsa_user_sgpr_dispatch_id 0
		.amdhsa_user_sgpr_private_segment_size 0
		.amdhsa_wavefront_size32 1
		.amdhsa_uses_dynamic_stack 0
		.amdhsa_enable_private_segment 0
		.amdhsa_system_sgpr_workgroup_id_x 1
		.amdhsa_system_sgpr_workgroup_id_y 0
		.amdhsa_system_sgpr_workgroup_id_z 1
		.amdhsa_system_sgpr_workgroup_info 0
		.amdhsa_system_vgpr_workitem_id 0
		.amdhsa_next_free_vgpr 10
		.amdhsa_next_free_sgpr 18
		.amdhsa_reserve_vcc 1
		.amdhsa_float_round_mode_32 0
		.amdhsa_float_round_mode_16_64 0
		.amdhsa_float_denorm_mode_32 3
		.amdhsa_float_denorm_mode_16_64 3
		.amdhsa_dx10_clamp 1
		.amdhsa_ieee_mode 1
		.amdhsa_fp16_overflow 0
		.amdhsa_workgroup_processor_mode 1
		.amdhsa_memory_ordered 1
		.amdhsa_forward_progress 0
		.amdhsa_shared_vgpr_count 0
		.amdhsa_exception_fp_ieee_invalid_op 0
		.amdhsa_exception_fp_denorm_src 0
		.amdhsa_exception_fp_ieee_div_zero 0
		.amdhsa_exception_fp_ieee_overflow 0
		.amdhsa_exception_fp_ieee_underflow 0
		.amdhsa_exception_fp_ieee_inexact 0
		.amdhsa_exception_int_div_zero 0
	.end_amdhsa_kernel
	.section	.text._ZL22rocblas_saxpy_2_kernelILi256EfPKDF16_S1_PDF16_EviT1_lT2_llT3_lli,"axG",@progbits,_ZL22rocblas_saxpy_2_kernelILi256EfPKDF16_S1_PDF16_EviT1_lT2_llT3_lli,comdat
.Lfunc_end142:
	.size	_ZL22rocblas_saxpy_2_kernelILi256EfPKDF16_S1_PDF16_EviT1_lT2_llT3_lli, .Lfunc_end142-_ZL22rocblas_saxpy_2_kernelILi256EfPKDF16_S1_PDF16_EviT1_lT2_llT3_lli
                                        ; -- End function
	.section	.AMDGPU.csdata,"",@progbits
; Kernel info:
; codeLenInByte = 428
; NumSgprs: 20
; NumVgprs: 10
; ScratchSize: 0
; MemoryBound: 0
; FloatMode: 240
; IeeeMode: 1
; LDSByteSize: 0 bytes/workgroup (compile time only)
; SGPRBlocks: 2
; VGPRBlocks: 1
; NumSGPRsForWavesPerEU: 20
; NumVGPRsForWavesPerEU: 10
; Occupancy: 16
; WaveLimiterHint : 0
; COMPUTE_PGM_RSRC2:SCRATCH_EN: 0
; COMPUTE_PGM_RSRC2:USER_SGPR: 14
; COMPUTE_PGM_RSRC2:TRAP_HANDLER: 0
; COMPUTE_PGM_RSRC2:TGID_X_EN: 1
; COMPUTE_PGM_RSRC2:TGID_Y_EN: 0
; COMPUTE_PGM_RSRC2:TGID_Z_EN: 1
; COMPUTE_PGM_RSRC2:TIDIG_COMP_CNT: 0
	.section	.text._ZL22rocblas_saxpy_2_kernelILi256EfDF16_PKDF16_PDF16_EviT1_lT2_llT3_lli,"axG",@progbits,_ZL22rocblas_saxpy_2_kernelILi256EfDF16_PKDF16_PDF16_EviT1_lT2_llT3_lli,comdat
	.globl	_ZL22rocblas_saxpy_2_kernelILi256EfDF16_PKDF16_PDF16_EviT1_lT2_llT3_lli ; -- Begin function _ZL22rocblas_saxpy_2_kernelILi256EfDF16_PKDF16_PDF16_EviT1_lT2_llT3_lli
	.p2align	8
	.type	_ZL22rocblas_saxpy_2_kernelILi256EfDF16_PKDF16_PDF16_EviT1_lT2_llT3_lli,@function
_ZL22rocblas_saxpy_2_kernelILi256EfDF16_PKDF16_PDF16_EviT1_lT2_llT3_lli: ; @_ZL22rocblas_saxpy_2_kernelILi256EfDF16_PKDF16_PDF16_EviT1_lT2_llT3_lli
; %bb.0:
	s_load_b64 s[2:3], s[0:1], 0x0
	s_waitcnt lgkmcnt(0)
	v_cmp_eq_f16_e64 s4, s3, 0
	s_delay_alu instid0(VALU_DEP_1)
	s_and_b32 vcc_lo, exec_lo, s4
	s_cbranch_vccnz .LBB143_5
; %bb.1:
	s_clause 0x3
	s_load_b128 s[4:7], s[0:1], 0x18
	s_load_b128 s[8:11], s[0:1], 0x30
	s_load_b64 s[12:13], s[0:1], 0x10
	s_load_b64 s[0:1], s[0:1], 0x28
	v_dual_mov_b32 v3, 0 :: v_dual_lshlrev_b32 v0, 1, v0
	s_delay_alu instid0(VALU_DEP_1) | instskip(NEXT) | instid1(VALU_DEP_1)
	v_lshl_or_b32 v2, s14, 9, v0
	v_lshlrev_b64 v[0:1], 1, v[2:3]
	s_waitcnt lgkmcnt(0)
	s_mul_i32 s7, s15, s7
	s_mul_hi_u32 s16, s15, s6
	s_mul_i32 s6, s15, s6
	s_add_i32 s7, s16, s7
	s_mul_i32 s11, s15, s11
	s_lshl_b64 s[6:7], s[6:7], 1
	s_mul_hi_u32 s16, s15, s10
	s_add_u32 s12, s12, s6
	s_addc_u32 s7, s13, s7
	s_lshl_b64 s[4:5], s[4:5], 1
	s_mul_i32 s6, s15, s10
	s_add_u32 s4, s12, s4
	s_addc_u32 s5, s7, s5
	s_add_i32 s7, s16, s11
	s_delay_alu instid0(SALU_CYCLE_1) | instskip(NEXT) | instid1(SALU_CYCLE_1)
	s_lshl_b64 s[6:7], s[6:7], 1
	s_add_u32 s6, s0, s6
	s_addc_u32 s7, s1, s7
	s_lshl_b64 s[0:1], s[8:9], 1
	s_mov_b32 s8, exec_lo
	s_add_u32 s6, s6, s0
	s_addc_u32 s7, s7, s1
	s_add_i32 s0, s2, -1
	s_delay_alu instid0(SALU_CYCLE_1) | instskip(NEXT) | instid1(SALU_CYCLE_1)
	s_ashr_i32 s1, s0, 31
	v_cmpx_gt_i64_e64 s[0:1], v[2:3]
	s_cbranch_execz .LBB143_3
; %bb.2:
	v_add_co_u32 v4, vcc_lo, s6, v0
	v_add_co_ci_u32_e32 v5, vcc_lo, s7, v1, vcc_lo
	v_add_co_u32 v6, vcc_lo, s4, v0
	v_add_co_ci_u32_e32 v7, vcc_lo, s5, v1, vcc_lo
	global_load_b32 v8, v[4:5], off
	global_load_b32 v6, v[6:7], off
	s_waitcnt vmcnt(0)
	v_fma_mixlo_f16 v7, s3, v6, v8 op_sel_hi:[1,1,1]
	s_delay_alu instid0(VALU_DEP_1)
	v_fma_mixhi_f16 v7, s3, v6, v8 op_sel:[0,1,1] op_sel_hi:[1,1,1]
	global_store_b32 v[4:5], v7, off
.LBB143_3:
	s_or_b32 exec_lo, exec_lo, s8
	v_cmp_eq_u64_e32 vcc_lo, s[0:1], v[2:3]
	s_bitcmp1_b32 s2, 0
	s_cselect_b32 s0, -1, 0
	s_delay_alu instid0(SALU_CYCLE_1) | instskip(NEXT) | instid1(SALU_CYCLE_1)
	s_and_b32 s0, s0, vcc_lo
	s_and_saveexec_b32 s1, s0
	s_cbranch_execz .LBB143_5
; %bb.4:
	v_add_co_u32 v2, vcc_lo, s6, v0
	v_add_co_ci_u32_e32 v3, vcc_lo, s7, v1, vcc_lo
	v_add_co_u32 v0, vcc_lo, s4, v0
	v_add_co_ci_u32_e32 v1, vcc_lo, s5, v1, vcc_lo
	global_load_u16 v4, v[2:3], off
	global_load_u16 v0, v[0:1], off
	s_waitcnt vmcnt(0)
	v_fma_mixlo_f16 v0, s3, v0, v4 op_sel_hi:[1,1,1]
	global_store_b16 v[2:3], v0, off
.LBB143_5:
	s_nop 0
	s_sendmsg sendmsg(MSG_DEALLOC_VGPRS)
	s_endpgm
	.section	.rodata,"a",@progbits
	.p2align	6, 0x0
	.amdhsa_kernel _ZL22rocblas_saxpy_2_kernelILi256EfDF16_PKDF16_PDF16_EviT1_lT2_llT3_lli
		.amdhsa_group_segment_fixed_size 0
		.amdhsa_private_segment_fixed_size 0
		.amdhsa_kernarg_size 68
		.amdhsa_user_sgpr_count 14
		.amdhsa_user_sgpr_dispatch_ptr 0
		.amdhsa_user_sgpr_queue_ptr 0
		.amdhsa_user_sgpr_kernarg_segment_ptr 1
		.amdhsa_user_sgpr_dispatch_id 0
		.amdhsa_user_sgpr_private_segment_size 0
		.amdhsa_wavefront_size32 1
		.amdhsa_uses_dynamic_stack 0
		.amdhsa_enable_private_segment 0
		.amdhsa_system_sgpr_workgroup_id_x 1
		.amdhsa_system_sgpr_workgroup_id_y 0
		.amdhsa_system_sgpr_workgroup_id_z 1
		.amdhsa_system_sgpr_workgroup_info 0
		.amdhsa_system_vgpr_workitem_id 0
		.amdhsa_next_free_vgpr 9
		.amdhsa_next_free_sgpr 17
		.amdhsa_reserve_vcc 1
		.amdhsa_float_round_mode_32 0
		.amdhsa_float_round_mode_16_64 0
		.amdhsa_float_denorm_mode_32 3
		.amdhsa_float_denorm_mode_16_64 3
		.amdhsa_dx10_clamp 1
		.amdhsa_ieee_mode 1
		.amdhsa_fp16_overflow 0
		.amdhsa_workgroup_processor_mode 1
		.amdhsa_memory_ordered 1
		.amdhsa_forward_progress 0
		.amdhsa_shared_vgpr_count 0
		.amdhsa_exception_fp_ieee_invalid_op 0
		.amdhsa_exception_fp_denorm_src 0
		.amdhsa_exception_fp_ieee_div_zero 0
		.amdhsa_exception_fp_ieee_overflow 0
		.amdhsa_exception_fp_ieee_underflow 0
		.amdhsa_exception_fp_ieee_inexact 0
		.amdhsa_exception_int_div_zero 0
	.end_amdhsa_kernel
	.section	.text._ZL22rocblas_saxpy_2_kernelILi256EfDF16_PKDF16_PDF16_EviT1_lT2_llT3_lli,"axG",@progbits,_ZL22rocblas_saxpy_2_kernelILi256EfDF16_PKDF16_PDF16_EviT1_lT2_llT3_lli,comdat
.Lfunc_end143:
	.size	_ZL22rocblas_saxpy_2_kernelILi256EfDF16_PKDF16_PDF16_EviT1_lT2_llT3_lli, .Lfunc_end143-_ZL22rocblas_saxpy_2_kernelILi256EfDF16_PKDF16_PDF16_EviT1_lT2_llT3_lli
                                        ; -- End function
	.section	.AMDGPU.csdata,"",@progbits
; Kernel info:
; codeLenInByte = 388
; NumSgprs: 19
; NumVgprs: 9
; ScratchSize: 0
; MemoryBound: 0
; FloatMode: 240
; IeeeMode: 1
; LDSByteSize: 0 bytes/workgroup (compile time only)
; SGPRBlocks: 2
; VGPRBlocks: 1
; NumSGPRsForWavesPerEU: 19
; NumVGPRsForWavesPerEU: 9
; Occupancy: 16
; WaveLimiterHint : 0
; COMPUTE_PGM_RSRC2:SCRATCH_EN: 0
; COMPUTE_PGM_RSRC2:USER_SGPR: 14
; COMPUTE_PGM_RSRC2:TRAP_HANDLER: 0
; COMPUTE_PGM_RSRC2:TGID_X_EN: 1
; COMPUTE_PGM_RSRC2:TGID_Y_EN: 0
; COMPUTE_PGM_RSRC2:TGID_Z_EN: 1
; COMPUTE_PGM_RSRC2:TIDIG_COMP_CNT: 0
	.section	.text._ZL27rocblas_axpy_kernel_batchedIiLi128ELi8EfPKDF16_S1_PDF16_EviT3_lT4_lT_lT5_lS5_li,"axG",@progbits,_ZL27rocblas_axpy_kernel_batchedIiLi128ELi8EfPKDF16_S1_PDF16_EviT3_lT4_lT_lT5_lS5_li,comdat
	.globl	_ZL27rocblas_axpy_kernel_batchedIiLi128ELi8EfPKDF16_S1_PDF16_EviT3_lT4_lT_lT5_lS5_li ; -- Begin function _ZL27rocblas_axpy_kernel_batchedIiLi128ELi8EfPKDF16_S1_PDF16_EviT3_lT4_lT_lT5_lS5_li
	.p2align	8
	.type	_ZL27rocblas_axpy_kernel_batchedIiLi128ELi8EfPKDF16_S1_PDF16_EviT3_lT4_lT_lT5_lS5_li,@function
_ZL27rocblas_axpy_kernel_batchedIiLi128ELi8EfPKDF16_S1_PDF16_EviT3_lT4_lT_lT5_lS5_li: ; @_ZL27rocblas_axpy_kernel_batchedIiLi128ELi8EfPKDF16_S1_PDF16_EviT3_lT4_lT_lT5_lS5_li
; %bb.0:
	s_load_b32 s2, s[0:1], 0x0
	v_dual_mov_b32 v2, 0 :: v_dual_and_b32 v1, 0x3ff, v0
	s_delay_alu instid0(VALU_DEP_1)
	v_lshl_add_u32 v1, s14, 7, v1
	s_waitcnt lgkmcnt(0)
	s_ashr_i32 s3, s2, 31
	s_delay_alu instid0(VALU_DEP_1) | instid1(SALU_CYCLE_1)
	v_cmp_gt_i64_e32 vcc_lo, s[2:3], v[1:2]
	s_and_saveexec_b32 s2, vcc_lo
	s_cbranch_execz .LBB144_13
; %bb.1:
	s_clause 0x6
	s_load_b32 s13, s[0:1], 0x28
	s_load_b32 s14, s[0:1], 0x48
	s_load_b256 s[4:11], s[0:1], 0x8
	s_load_b128 s[16:19], s[0:1], 0x30
	s_load_b64 s[2:3], s[0:1], 0x50
	s_load_b32 s12, s[0:1], 0x58
	s_load_b64 s[0:1], s[0:1], 0x40
	v_bfe_u32 v0, v0, 10, 10
	s_waitcnt lgkmcnt(0)
	v_mad_u64_u32 v[2:3], null, s13, v1, 0
	v_mad_u64_u32 v[5:6], null, s14, v1, 0
	s_ashr_i32 s13, s13, 31
	s_lshl_b64 s[10:11], s[10:11], 1
	s_delay_alu instid0(VALU_DEP_1) | instskip(NEXT) | instid1(VALU_DEP_1)
	v_mov_b32_e32 v4, v6
	v_mad_u64_u32 v[6:7], null, s13, v1, v[3:4]
	s_ashr_i32 s13, s14, 31
	s_add_u32 s8, s10, s8
	s_delay_alu instid0(VALU_DEP_3) | instskip(SKIP_2) | instid1(VALU_DEP_3)
	v_mad_u64_u32 v[7:8], null, s13, v1, v[4:5]
	v_lshlrev_b32_e32 v4, 2, v0
	s_addc_u32 s9, s11, s9
	v_mov_b32_e32 v3, v6
	s_lshl_b64 s[0:1], s[0:1], 1
	s_delay_alu instid0(SALU_CYCLE_1) | instskip(NEXT) | instid1(VALU_DEP_3)
	s_add_u32 s0, s0, s18
	v_mov_b32_e32 v6, v7
	s_delay_alu instid0(VALU_DEP_2) | instskip(SKIP_2) | instid1(VALU_DEP_3)
	v_lshlrev_b64 v[0:1], 1, v[2:3]
	s_addc_u32 s1, s1, s19
	v_lshl_add_u32 v4, s15, 5, v4
	v_lshlrev_b64 v[2:3], 1, v[5:6]
	s_delay_alu instid0(VALU_DEP_3) | instskip(NEXT) | instid1(VALU_DEP_4)
	v_add_co_u32 v0, vcc_lo, s8, v0
	v_add_co_ci_u32_e32 v1, vcc_lo, s9, v1, vcc_lo
	s_delay_alu instid0(VALU_DEP_3) | instskip(NEXT) | instid1(VALU_DEP_4)
	v_add_co_u32 v2, vcc_lo, s0, v2
	v_add_co_ci_u32_e32 v3, vcc_lo, s1, v3, vcc_lo
	s_mov_b32 s0, exec_lo
	v_cmpx_gt_u32_e64 s12, v4
	s_cbranch_execz .LBB144_4
; %bb.2:
	v_mad_u64_u32 v[5:6], null, v4, s6, 0
	s_delay_alu instid0(VALU_DEP_1) | instskip(NEXT) | instid1(VALU_DEP_1)
	v_mad_u64_u32 v[7:8], null, v4, s7, v[6:7]
	v_mov_b32_e32 v6, v7
	s_delay_alu instid0(VALU_DEP_1) | instskip(NEXT) | instid1(VALU_DEP_1)
	v_lshlrev_b64 v[5:6], 1, v[5:6]
	v_add_co_u32 v5, vcc_lo, s4, v5
	s_delay_alu instid0(VALU_DEP_2)
	v_add_co_ci_u32_e32 v6, vcc_lo, s5, v6, vcc_lo
	global_load_u16 v5, v[5:6], off
	s_waitcnt vmcnt(0)
	v_cmp_neq_f16_e32 vcc_lo, 0, v5
	s_and_b32 exec_lo, exec_lo, vcc_lo
	s_cbranch_execz .LBB144_4
; %bb.3:
	v_mad_u64_u32 v[6:7], null, v4, s2, 0
	v_mad_u64_u32 v[8:9], null, v4, s16, 0
	s_delay_alu instid0(VALU_DEP_1) | instskip(NEXT) | instid1(VALU_DEP_1)
	v_mad_u64_u32 v[10:11], null, v4, s3, v[7:8]
	v_mad_u64_u32 v[11:12], null, v4, s17, v[9:10]
	v_mov_b32_e32 v7, v10
	s_delay_alu instid0(VALU_DEP_1) | instskip(NEXT) | instid1(VALU_DEP_3)
	v_lshlrev_b64 v[6:7], 1, v[6:7]
	v_mov_b32_e32 v9, v11
	s_delay_alu instid0(VALU_DEP_2) | instskip(NEXT) | instid1(VALU_DEP_2)
	v_add_co_u32 v6, vcc_lo, v2, v6
	v_lshlrev_b64 v[8:9], 1, v[8:9]
	s_delay_alu instid0(VALU_DEP_4) | instskip(NEXT) | instid1(VALU_DEP_2)
	v_add_co_ci_u32_e32 v7, vcc_lo, v3, v7, vcc_lo
	v_add_co_u32 v8, vcc_lo, v0, v8
	s_delay_alu instid0(VALU_DEP_3)
	v_add_co_ci_u32_e32 v9, vcc_lo, v1, v9, vcc_lo
	global_load_u16 v10, v[6:7], off
	global_load_u16 v8, v[8:9], off
	s_waitcnt vmcnt(0)
	v_fma_mixlo_f16 v5, v5, v8, v10 op_sel_hi:[1,1,1]
	global_store_b16 v[6:7], v5, off
.LBB144_4:
	s_or_b32 exec_lo, exec_lo, s0
	v_or_b32_e32 v5, 1, v4
	s_mov_b32 s0, exec_lo
	s_delay_alu instid0(VALU_DEP_1)
	v_cmpx_gt_u32_e64 s12, v5
	s_cbranch_execz .LBB144_7
; %bb.5:
	v_mad_u64_u32 v[6:7], null, v5, s6, 0
	s_delay_alu instid0(VALU_DEP_1) | instskip(NEXT) | instid1(VALU_DEP_1)
	v_mad_u64_u32 v[8:9], null, v5, s7, v[7:8]
	v_mov_b32_e32 v7, v8
	s_delay_alu instid0(VALU_DEP_1) | instskip(NEXT) | instid1(VALU_DEP_1)
	v_lshlrev_b64 v[6:7], 1, v[6:7]
	v_add_co_u32 v6, vcc_lo, s4, v6
	s_delay_alu instid0(VALU_DEP_2)
	v_add_co_ci_u32_e32 v7, vcc_lo, s5, v7, vcc_lo
	global_load_u16 v6, v[6:7], off
	s_waitcnt vmcnt(0)
	v_cmp_neq_f16_e32 vcc_lo, 0, v6
	s_and_b32 exec_lo, exec_lo, vcc_lo
	s_cbranch_execz .LBB144_7
; %bb.6:
	v_mad_u64_u32 v[7:8], null, v5, s2, 0
	v_mad_u64_u32 v[9:10], null, v5, s16, 0
	s_delay_alu instid0(VALU_DEP_1) | instskip(NEXT) | instid1(VALU_DEP_1)
	v_mad_u64_u32 v[11:12], null, v5, s3, v[8:9]
	v_mad_u64_u32 v[12:13], null, v5, s17, v[10:11]
	v_mov_b32_e32 v8, v11
	s_delay_alu instid0(VALU_DEP_1) | instskip(NEXT) | instid1(VALU_DEP_3)
	v_lshlrev_b64 v[7:8], 1, v[7:8]
	v_mov_b32_e32 v10, v12
	s_delay_alu instid0(VALU_DEP_2) | instskip(NEXT) | instid1(VALU_DEP_2)
	v_add_co_u32 v7, vcc_lo, v2, v7
	v_lshlrev_b64 v[9:10], 1, v[9:10]
	s_delay_alu instid0(VALU_DEP_4) | instskip(NEXT) | instid1(VALU_DEP_2)
	v_add_co_ci_u32_e32 v8, vcc_lo, v3, v8, vcc_lo
	v_add_co_u32 v9, vcc_lo, v0, v9
	s_delay_alu instid0(VALU_DEP_3)
	v_add_co_ci_u32_e32 v10, vcc_lo, v1, v10, vcc_lo
	global_load_u16 v5, v[7:8], off
	global_load_u16 v9, v[9:10], off
	s_waitcnt vmcnt(0)
	v_fma_mixlo_f16 v5, v6, v9, v5 op_sel_hi:[1,1,1]
	global_store_b16 v[7:8], v5, off
.LBB144_7:
	s_or_b32 exec_lo, exec_lo, s0
	v_or_b32_e32 v5, 2, v4
	s_mov_b32 s0, exec_lo
	s_delay_alu instid0(VALU_DEP_1)
	v_cmpx_gt_u32_e64 s12, v5
	s_cbranch_execz .LBB144_10
; %bb.8:
	v_mad_u64_u32 v[6:7], null, v5, s6, 0
	s_delay_alu instid0(VALU_DEP_1) | instskip(NEXT) | instid1(VALU_DEP_1)
	v_mad_u64_u32 v[8:9], null, v5, s7, v[7:8]
	v_mov_b32_e32 v7, v8
	s_delay_alu instid0(VALU_DEP_1) | instskip(NEXT) | instid1(VALU_DEP_1)
	v_lshlrev_b64 v[6:7], 1, v[6:7]
	v_add_co_u32 v6, vcc_lo, s4, v6
	s_delay_alu instid0(VALU_DEP_2)
	v_add_co_ci_u32_e32 v7, vcc_lo, s5, v7, vcc_lo
	global_load_u16 v6, v[6:7], off
	s_waitcnt vmcnt(0)
	v_cmp_neq_f16_e32 vcc_lo, 0, v6
	s_and_b32 exec_lo, exec_lo, vcc_lo
	s_cbranch_execz .LBB144_10
; %bb.9:
	v_mad_u64_u32 v[7:8], null, v5, s2, 0
	v_mad_u64_u32 v[9:10], null, v5, s16, 0
	s_delay_alu instid0(VALU_DEP_1) | instskip(NEXT) | instid1(VALU_DEP_1)
	v_mad_u64_u32 v[11:12], null, v5, s3, v[8:9]
	v_mad_u64_u32 v[12:13], null, v5, s17, v[10:11]
	v_mov_b32_e32 v8, v11
	s_delay_alu instid0(VALU_DEP_1) | instskip(NEXT) | instid1(VALU_DEP_3)
	v_lshlrev_b64 v[7:8], 1, v[7:8]
	v_mov_b32_e32 v10, v12
	s_delay_alu instid0(VALU_DEP_2) | instskip(NEXT) | instid1(VALU_DEP_2)
	v_add_co_u32 v7, vcc_lo, v2, v7
	v_lshlrev_b64 v[9:10], 1, v[9:10]
	s_delay_alu instid0(VALU_DEP_4) | instskip(NEXT) | instid1(VALU_DEP_2)
	v_add_co_ci_u32_e32 v8, vcc_lo, v3, v8, vcc_lo
	v_add_co_u32 v9, vcc_lo, v0, v9
	s_delay_alu instid0(VALU_DEP_3)
	v_add_co_ci_u32_e32 v10, vcc_lo, v1, v10, vcc_lo
	global_load_u16 v5, v[7:8], off
	global_load_u16 v9, v[9:10], off
	s_waitcnt vmcnt(0)
	v_fma_mixlo_f16 v5, v6, v9, v5 op_sel_hi:[1,1,1]
	global_store_b16 v[7:8], v5, off
.LBB144_10:
	s_or_b32 exec_lo, exec_lo, s0
	v_or_b32_e32 v4, 3, v4
	s_delay_alu instid0(VALU_DEP_1)
	v_cmp_gt_u32_e32 vcc_lo, s12, v4
	s_and_b32 exec_lo, exec_lo, vcc_lo
	s_cbranch_execz .LBB144_13
; %bb.11:
	v_mad_u64_u32 v[5:6], null, v4, s6, 0
	s_delay_alu instid0(VALU_DEP_1) | instskip(NEXT) | instid1(VALU_DEP_1)
	v_mad_u64_u32 v[7:8], null, v4, s7, v[6:7]
	v_mov_b32_e32 v6, v7
	s_delay_alu instid0(VALU_DEP_1) | instskip(NEXT) | instid1(VALU_DEP_1)
	v_lshlrev_b64 v[5:6], 1, v[5:6]
	v_add_co_u32 v5, vcc_lo, s4, v5
	s_delay_alu instid0(VALU_DEP_2)
	v_add_co_ci_u32_e32 v6, vcc_lo, s5, v6, vcc_lo
	global_load_u16 v5, v[5:6], off
	s_waitcnt vmcnt(0)
	v_cmp_neq_f16_e32 vcc_lo, 0, v5
	s_and_b32 exec_lo, exec_lo, vcc_lo
	s_cbranch_execz .LBB144_13
; %bb.12:
	v_mad_u64_u32 v[6:7], null, v4, s2, 0
	v_mad_u64_u32 v[8:9], null, v4, s16, 0
	s_delay_alu instid0(VALU_DEP_1) | instskip(NEXT) | instid1(VALU_DEP_1)
	v_mad_u64_u32 v[10:11], null, v4, s3, v[7:8]
	v_mad_u64_u32 v[11:12], null, v4, s17, v[9:10]
	v_mov_b32_e32 v7, v10
	s_delay_alu instid0(VALU_DEP_1) | instskip(NEXT) | instid1(VALU_DEP_3)
	v_lshlrev_b64 v[6:7], 1, v[6:7]
	v_mov_b32_e32 v9, v11
	s_delay_alu instid0(VALU_DEP_2) | instskip(NEXT) | instid1(VALU_DEP_2)
	v_add_co_u32 v2, vcc_lo, v2, v6
	v_lshlrev_b64 v[8:9], 1, v[8:9]
	s_delay_alu instid0(VALU_DEP_4) | instskip(NEXT) | instid1(VALU_DEP_2)
	v_add_co_ci_u32_e32 v3, vcc_lo, v3, v7, vcc_lo
	v_add_co_u32 v0, vcc_lo, v0, v8
	s_delay_alu instid0(VALU_DEP_3)
	v_add_co_ci_u32_e32 v1, vcc_lo, v1, v9, vcc_lo
	global_load_u16 v4, v[2:3], off
	global_load_u16 v0, v[0:1], off
	s_waitcnt vmcnt(0)
	v_fma_mixlo_f16 v0, v5, v0, v4 op_sel_hi:[1,1,1]
	global_store_b16 v[2:3], v0, off
.LBB144_13:
	s_nop 0
	s_sendmsg sendmsg(MSG_DEALLOC_VGPRS)
	s_endpgm
	.section	.rodata,"a",@progbits
	.p2align	6, 0x0
	.amdhsa_kernel _ZL27rocblas_axpy_kernel_batchedIiLi128ELi8EfPKDF16_S1_PDF16_EviT3_lT4_lT_lT5_lS5_li
		.amdhsa_group_segment_fixed_size 0
		.amdhsa_private_segment_fixed_size 0
		.amdhsa_kernarg_size 92
		.amdhsa_user_sgpr_count 14
		.amdhsa_user_sgpr_dispatch_ptr 0
		.amdhsa_user_sgpr_queue_ptr 0
		.amdhsa_user_sgpr_kernarg_segment_ptr 1
		.amdhsa_user_sgpr_dispatch_id 0
		.amdhsa_user_sgpr_private_segment_size 0
		.amdhsa_wavefront_size32 1
		.amdhsa_uses_dynamic_stack 0
		.amdhsa_enable_private_segment 0
		.amdhsa_system_sgpr_workgroup_id_x 1
		.amdhsa_system_sgpr_workgroup_id_y 0
		.amdhsa_system_sgpr_workgroup_id_z 1
		.amdhsa_system_sgpr_workgroup_info 0
		.amdhsa_system_vgpr_workitem_id 1
		.amdhsa_next_free_vgpr 14
		.amdhsa_next_free_sgpr 20
		.amdhsa_reserve_vcc 1
		.amdhsa_float_round_mode_32 0
		.amdhsa_float_round_mode_16_64 0
		.amdhsa_float_denorm_mode_32 3
		.amdhsa_float_denorm_mode_16_64 3
		.amdhsa_dx10_clamp 1
		.amdhsa_ieee_mode 1
		.amdhsa_fp16_overflow 0
		.amdhsa_workgroup_processor_mode 1
		.amdhsa_memory_ordered 1
		.amdhsa_forward_progress 0
		.amdhsa_shared_vgpr_count 0
		.amdhsa_exception_fp_ieee_invalid_op 0
		.amdhsa_exception_fp_denorm_src 0
		.amdhsa_exception_fp_ieee_div_zero 0
		.amdhsa_exception_fp_ieee_overflow 0
		.amdhsa_exception_fp_ieee_underflow 0
		.amdhsa_exception_fp_ieee_inexact 0
		.amdhsa_exception_int_div_zero 0
	.end_amdhsa_kernel
	.section	.text._ZL27rocblas_axpy_kernel_batchedIiLi128ELi8EfPKDF16_S1_PDF16_EviT3_lT4_lT_lT5_lS5_li,"axG",@progbits,_ZL27rocblas_axpy_kernel_batchedIiLi128ELi8EfPKDF16_S1_PDF16_EviT3_lT4_lT_lT5_lS5_li,comdat
.Lfunc_end144:
	.size	_ZL27rocblas_axpy_kernel_batchedIiLi128ELi8EfPKDF16_S1_PDF16_EviT3_lT4_lT_lT5_lS5_li, .Lfunc_end144-_ZL27rocblas_axpy_kernel_batchedIiLi128ELi8EfPKDF16_S1_PDF16_EviT3_lT4_lT_lT5_lS5_li
                                        ; -- End function
	.section	.AMDGPU.csdata,"",@progbits
; Kernel info:
; codeLenInByte = 1236
; NumSgprs: 22
; NumVgprs: 14
; ScratchSize: 0
; MemoryBound: 0
; FloatMode: 240
; IeeeMode: 1
; LDSByteSize: 0 bytes/workgroup (compile time only)
; SGPRBlocks: 2
; VGPRBlocks: 1
; NumSGPRsForWavesPerEU: 22
; NumVGPRsForWavesPerEU: 14
; Occupancy: 16
; WaveLimiterHint : 0
; COMPUTE_PGM_RSRC2:SCRATCH_EN: 0
; COMPUTE_PGM_RSRC2:USER_SGPR: 14
; COMPUTE_PGM_RSRC2:TRAP_HANDLER: 0
; COMPUTE_PGM_RSRC2:TGID_X_EN: 1
; COMPUTE_PGM_RSRC2:TGID_Y_EN: 0
; COMPUTE_PGM_RSRC2:TGID_Z_EN: 1
; COMPUTE_PGM_RSRC2:TIDIG_COMP_CNT: 1
	.section	.text._ZL27rocblas_axpy_kernel_batchedIiLi128ELi8EfDF16_PKDF16_PDF16_EviT3_lT4_lT_lT5_lS5_li,"axG",@progbits,_ZL27rocblas_axpy_kernel_batchedIiLi128ELi8EfDF16_PKDF16_PDF16_EviT3_lT4_lT_lT5_lS5_li,comdat
	.globl	_ZL27rocblas_axpy_kernel_batchedIiLi128ELi8EfDF16_PKDF16_PDF16_EviT3_lT4_lT_lT5_lS5_li ; -- Begin function _ZL27rocblas_axpy_kernel_batchedIiLi128ELi8EfDF16_PKDF16_PDF16_EviT3_lT4_lT_lT5_lS5_li
	.p2align	8
	.type	_ZL27rocblas_axpy_kernel_batchedIiLi128ELi8EfDF16_PKDF16_PDF16_EviT3_lT4_lT_lT5_lS5_li,@function
_ZL27rocblas_axpy_kernel_batchedIiLi128ELi8EfDF16_PKDF16_PDF16_EviT3_lT4_lT_lT5_lS5_li: ; @_ZL27rocblas_axpy_kernel_batchedIiLi128ELi8EfDF16_PKDF16_PDF16_EviT3_lT4_lT_lT5_lS5_li
; %bb.0:
	s_load_b64 s[8:9], s[0:1], 0x0
	v_dual_mov_b32 v2, 0 :: v_dual_and_b32 v1, 0x3ff, v0
	s_delay_alu instid0(VALU_DEP_1)
	v_lshl_add_u32 v1, s14, 7, v1
	s_waitcnt lgkmcnt(0)
	s_ashr_i32 s3, s8, 31
	s_mov_b32 s2, s8
	s_delay_alu instid0(VALU_DEP_1) | instid1(SALU_CYCLE_1)
	v_cmp_gt_i64_e32 vcc_lo, s[2:3], v[1:2]
	s_and_saveexec_b32 s2, vcc_lo
	s_cbranch_execz .LBB145_9
; %bb.1:
	s_clause 0x6
	s_load_b32 s12, s[0:1], 0x20
	s_load_b32 s13, s[0:1], 0x40
	s_load_b128 s[16:19], s[0:1], 0x10
	s_load_b64 s[2:3], s[0:1], 0x48
	s_load_b32 s8, s[0:1], 0x50
	s_load_b64 s[10:11], s[0:1], 0x38
	s_load_b128 s[4:7], s[0:1], 0x28
	v_bfe_u32 v8, v0, 10, 10
	v_cmp_neq_f16_e64 s1, s9, 0
	s_waitcnt lgkmcnt(0)
	v_mad_u64_u32 v[2:3], null, s12, v1, 0
	v_mad_u64_u32 v[6:7], null, s13, v1, 0
	s_ashr_i32 s0, s12, 31
	s_delay_alu instid0(VALU_DEP_2) | instid1(SALU_CYCLE_1)
	v_mad_u64_u32 v[4:5], null, s0, v1, v[3:4]
	s_delay_alu instid0(VALU_DEP_2) | instskip(SKIP_2) | instid1(VALU_DEP_1)
	v_dual_mov_b32 v0, v7 :: v_dual_lshlrev_b32 v3, 2, v8
	s_ashr_i32 s0, s13, 31
	s_lshl_b64 s[12:13], s[18:19], 1
	v_mad_u64_u32 v[7:8], null, s0, v1, v[0:1]
	s_delay_alu instid0(VALU_DEP_2) | instskip(NEXT) | instid1(VALU_DEP_4)
	v_lshl_add_u32 v5, s15, 5, v3
	v_mov_b32_e32 v3, v4
	s_add_u32 s0, s12, s16
	s_addc_u32 s12, s13, s17
	s_lshl_b64 s[10:11], s[10:11], 1
	v_cmp_gt_u32_e32 vcc_lo, s8, v5
	v_lshlrev_b64 v[1:2], 1, v[2:3]
	v_lshlrev_b64 v[3:4], 1, v[6:7]
	s_add_u32 s6, s10, s6
	s_addc_u32 s7, s11, s7
	v_cvt_f32_f16_e32 v0, s9
	s_delay_alu instid0(VALU_DEP_3) | instskip(NEXT) | instid1(VALU_DEP_1)
	v_add_co_u32 v1, s0, s0, v1
	v_add_co_ci_u32_e64 v2, s0, s12, v2, s0
	v_add_co_u32 v3, s0, s6, v3
	s_delay_alu instid0(VALU_DEP_1) | instskip(SKIP_1) | instid1(SALU_CYCLE_1)
	v_add_co_ci_u32_e64 v4, s0, s7, v4, s0
	s_and_b32 s6, s1, vcc_lo
	s_and_saveexec_b32 s0, s6
	s_cbranch_execz .LBB145_3
; %bb.2:
	v_mad_u64_u32 v[6:7], null, v5, s2, 0
	v_mad_u64_u32 v[8:9], null, v5, s4, 0
	s_delay_alu instid0(VALU_DEP_1) | instskip(NEXT) | instid1(VALU_DEP_1)
	v_mad_u64_u32 v[10:11], null, v5, s3, v[7:8]
	v_mad_u64_u32 v[11:12], null, v5, s5, v[9:10]
	v_mov_b32_e32 v7, v10
	s_delay_alu instid0(VALU_DEP_1) | instskip(NEXT) | instid1(VALU_DEP_3)
	v_lshlrev_b64 v[6:7], 1, v[6:7]
	v_mov_b32_e32 v9, v11
	s_delay_alu instid0(VALU_DEP_2) | instskip(NEXT) | instid1(VALU_DEP_2)
	v_add_co_u32 v6, vcc_lo, v3, v6
	v_lshlrev_b64 v[8:9], 1, v[8:9]
	s_delay_alu instid0(VALU_DEP_4) | instskip(NEXT) | instid1(VALU_DEP_2)
	v_add_co_ci_u32_e32 v7, vcc_lo, v4, v7, vcc_lo
	v_add_co_u32 v8, vcc_lo, v1, v8
	s_delay_alu instid0(VALU_DEP_3)
	v_add_co_ci_u32_e32 v9, vcc_lo, v2, v9, vcc_lo
	global_load_u16 v10, v[6:7], off
	global_load_u16 v8, v[8:9], off
	s_waitcnt vmcnt(0)
	v_fma_mixlo_f16 v8, v0, v8, v10 op_sel_hi:[0,1,1]
	global_store_b16 v[6:7], v8, off
.LBB145_3:
	s_or_b32 exec_lo, exec_lo, s0
	v_or_b32_e32 v6, 1, v5
	s_delay_alu instid0(VALU_DEP_1) | instskip(SKIP_1) | instid1(SALU_CYCLE_1)
	v_cmp_gt_u32_e32 vcc_lo, s8, v6
	s_and_b32 s6, s1, vcc_lo
	s_and_saveexec_b32 s0, s6
	s_cbranch_execz .LBB145_5
; %bb.4:
	v_mad_u64_u32 v[7:8], null, v6, s2, 0
	v_mad_u64_u32 v[9:10], null, v6, s4, 0
	s_delay_alu instid0(VALU_DEP_1) | instskip(NEXT) | instid1(VALU_DEP_1)
	v_mad_u64_u32 v[11:12], null, v6, s3, v[8:9]
	v_mad_u64_u32 v[12:13], null, v6, s5, v[10:11]
	v_mov_b32_e32 v8, v11
	s_delay_alu instid0(VALU_DEP_1) | instskip(NEXT) | instid1(VALU_DEP_3)
	v_lshlrev_b64 v[6:7], 1, v[7:8]
	v_mov_b32_e32 v10, v12
	s_delay_alu instid0(VALU_DEP_2) | instskip(NEXT) | instid1(VALU_DEP_2)
	v_add_co_u32 v6, vcc_lo, v3, v6
	v_lshlrev_b64 v[8:9], 1, v[9:10]
	s_delay_alu instid0(VALU_DEP_4) | instskip(NEXT) | instid1(VALU_DEP_2)
	v_add_co_ci_u32_e32 v7, vcc_lo, v4, v7, vcc_lo
	v_add_co_u32 v8, vcc_lo, v1, v8
	s_delay_alu instid0(VALU_DEP_3)
	v_add_co_ci_u32_e32 v9, vcc_lo, v2, v9, vcc_lo
	global_load_u16 v10, v[6:7], off
	global_load_u16 v8, v[8:9], off
	s_waitcnt vmcnt(0)
	v_fma_mixlo_f16 v8, v0, v8, v10 op_sel_hi:[0,1,1]
	global_store_b16 v[6:7], v8, off
.LBB145_5:
	s_or_b32 exec_lo, exec_lo, s0
	v_or_b32_e32 v6, 2, v5
	s_delay_alu instid0(VALU_DEP_1) | instskip(SKIP_1) | instid1(SALU_CYCLE_1)
	v_cmp_gt_u32_e32 vcc_lo, s8, v6
	;; [unrolled: 31-line block ×3, first 2 shown]
	s_and_b32 s0, s1, vcc_lo
	s_and_b32 exec_lo, exec_lo, s0
	s_cbranch_execz .LBB145_9
; %bb.8:
	v_mad_u64_u32 v[6:7], null, v5, s2, 0
	v_mad_u64_u32 v[8:9], null, v5, s4, 0
	s_delay_alu instid0(VALU_DEP_1) | instskip(NEXT) | instid1(VALU_DEP_1)
	v_mad_u64_u32 v[10:11], null, v5, s3, v[7:8]
	v_mad_u64_u32 v[11:12], null, v5, s5, v[9:10]
	v_mov_b32_e32 v7, v10
	s_delay_alu instid0(VALU_DEP_1) | instskip(NEXT) | instid1(VALU_DEP_3)
	v_lshlrev_b64 v[5:6], 1, v[6:7]
	v_mov_b32_e32 v9, v11
	s_delay_alu instid0(VALU_DEP_2) | instskip(NEXT) | instid1(VALU_DEP_2)
	v_add_co_u32 v3, vcc_lo, v3, v5
	v_lshlrev_b64 v[7:8], 1, v[8:9]
	s_delay_alu instid0(VALU_DEP_4) | instskip(NEXT) | instid1(VALU_DEP_2)
	v_add_co_ci_u32_e32 v4, vcc_lo, v4, v6, vcc_lo
	v_add_co_u32 v1, vcc_lo, v1, v7
	s_delay_alu instid0(VALU_DEP_3)
	v_add_co_ci_u32_e32 v2, vcc_lo, v2, v8, vcc_lo
	global_load_u16 v5, v[3:4], off
	global_load_u16 v1, v[1:2], off
	s_waitcnt vmcnt(0)
	v_fma_mixlo_f16 v0, v0, v1, v5 op_sel_hi:[0,1,1]
	global_store_b16 v[3:4], v0, off
.LBB145_9:
	s_nop 0
	s_sendmsg sendmsg(MSG_DEALLOC_VGPRS)
	s_endpgm
	.section	.rodata,"a",@progbits
	.p2align	6, 0x0
	.amdhsa_kernel _ZL27rocblas_axpy_kernel_batchedIiLi128ELi8EfDF16_PKDF16_PDF16_EviT3_lT4_lT_lT5_lS5_li
		.amdhsa_group_segment_fixed_size 0
		.amdhsa_private_segment_fixed_size 0
		.amdhsa_kernarg_size 84
		.amdhsa_user_sgpr_count 14
		.amdhsa_user_sgpr_dispatch_ptr 0
		.amdhsa_user_sgpr_queue_ptr 0
		.amdhsa_user_sgpr_kernarg_segment_ptr 1
		.amdhsa_user_sgpr_dispatch_id 0
		.amdhsa_user_sgpr_private_segment_size 0
		.amdhsa_wavefront_size32 1
		.amdhsa_uses_dynamic_stack 0
		.amdhsa_enable_private_segment 0
		.amdhsa_system_sgpr_workgroup_id_x 1
		.amdhsa_system_sgpr_workgroup_id_y 0
		.amdhsa_system_sgpr_workgroup_id_z 1
		.amdhsa_system_sgpr_workgroup_info 0
		.amdhsa_system_vgpr_workitem_id 1
		.amdhsa_next_free_vgpr 14
		.amdhsa_next_free_sgpr 20
		.amdhsa_reserve_vcc 1
		.amdhsa_float_round_mode_32 0
		.amdhsa_float_round_mode_16_64 0
		.amdhsa_float_denorm_mode_32 3
		.amdhsa_float_denorm_mode_16_64 3
		.amdhsa_dx10_clamp 1
		.amdhsa_ieee_mode 1
		.amdhsa_fp16_overflow 0
		.amdhsa_workgroup_processor_mode 1
		.amdhsa_memory_ordered 1
		.amdhsa_forward_progress 0
		.amdhsa_shared_vgpr_count 0
		.amdhsa_exception_fp_ieee_invalid_op 0
		.amdhsa_exception_fp_denorm_src 0
		.amdhsa_exception_fp_ieee_div_zero 0
		.amdhsa_exception_fp_ieee_overflow 0
		.amdhsa_exception_fp_ieee_underflow 0
		.amdhsa_exception_fp_ieee_inexact 0
		.amdhsa_exception_int_div_zero 0
	.end_amdhsa_kernel
	.section	.text._ZL27rocblas_axpy_kernel_batchedIiLi128ELi8EfDF16_PKDF16_PDF16_EviT3_lT4_lT_lT5_lS5_li,"axG",@progbits,_ZL27rocblas_axpy_kernel_batchedIiLi128ELi8EfDF16_PKDF16_PDF16_EviT3_lT4_lT_lT5_lS5_li,comdat
.Lfunc_end145:
	.size	_ZL27rocblas_axpy_kernel_batchedIiLi128ELi8EfDF16_PKDF16_PDF16_EviT3_lT4_lT_lT5_lS5_li, .Lfunc_end145-_ZL27rocblas_axpy_kernel_batchedIiLi128ELi8EfDF16_PKDF16_PDF16_EviT3_lT4_lT_lT5_lS5_li
                                        ; -- End function
	.section	.AMDGPU.csdata,"",@progbits
; Kernel info:
; codeLenInByte = 952
; NumSgprs: 22
; NumVgprs: 14
; ScratchSize: 0
; MemoryBound: 0
; FloatMode: 240
; IeeeMode: 1
; LDSByteSize: 0 bytes/workgroup (compile time only)
; SGPRBlocks: 2
; VGPRBlocks: 1
; NumSGPRsForWavesPerEU: 22
; NumVGPRsForWavesPerEU: 14
; Occupancy: 16
; WaveLimiterHint : 0
; COMPUTE_PGM_RSRC2:SCRATCH_EN: 0
; COMPUTE_PGM_RSRC2:USER_SGPR: 14
; COMPUTE_PGM_RSRC2:TRAP_HANDLER: 0
; COMPUTE_PGM_RSRC2:TGID_X_EN: 1
; COMPUTE_PGM_RSRC2:TGID_Y_EN: 0
; COMPUTE_PGM_RSRC2:TGID_Z_EN: 1
; COMPUTE_PGM_RSRC2:TIDIG_COMP_CNT: 1
	.section	.text._ZL19rocblas_axpy_kernelIiLi256EfPKDF16_S1_PDF16_EviT2_lT3_lT_lT4_lS5_li,"axG",@progbits,_ZL19rocblas_axpy_kernelIiLi256EfPKDF16_S1_PDF16_EviT2_lT3_lT_lT4_lS5_li,comdat
	.globl	_ZL19rocblas_axpy_kernelIiLi256EfPKDF16_S1_PDF16_EviT2_lT3_lT_lT4_lS5_li ; -- Begin function _ZL19rocblas_axpy_kernelIiLi256EfPKDF16_S1_PDF16_EviT2_lT3_lT_lT4_lS5_li
	.p2align	8
	.type	_ZL19rocblas_axpy_kernelIiLi256EfPKDF16_S1_PDF16_EviT2_lT3_lT_lT4_lS5_li,@function
_ZL19rocblas_axpy_kernelIiLi256EfPKDF16_S1_PDF16_EviT2_lT3_lT_lT4_lS5_li: ; @_ZL19rocblas_axpy_kernelIiLi256EfPKDF16_S1_PDF16_EviT2_lT3_lT_lT4_lS5_li
; %bb.0:
	s_clause 0x1
	s_load_b128 s[4:7], s[0:1], 0x8
	s_load_b32 s2, s[0:1], 0x0
	v_mov_b32_e32 v1, 0
	v_lshl_or_b32 v0, s14, 8, v0
	s_waitcnt lgkmcnt(0)
	s_mul_i32 s3, s15, s7
	s_mul_hi_u32 s7, s15, s6
	s_mul_i32 s6, s15, s6
	s_add_i32 s7, s7, s3
	s_ashr_i32 s3, s2, 31
	s_lshl_b64 s[6:7], s[6:7], 1
	v_cmp_gt_i64_e32 vcc_lo, s[2:3], v[0:1]
	s_add_u32 s4, s4, s6
	s_addc_u32 s5, s5, s7
	global_load_u16 v2, v1, s[4:5]
	s_waitcnt vmcnt(0)
	v_cmp_neq_f16_e64 s2, 0, v2
	s_delay_alu instid0(VALU_DEP_1) | instskip(NEXT) | instid1(SALU_CYCLE_1)
	s_and_b32 s2, vcc_lo, s2
	s_and_saveexec_b32 s3, s2
	s_cbranch_execz .LBB146_2
; %bb.1:
	s_clause 0x5
	s_load_b32 s12, s[0:1], 0x28
	s_load_b32 s13, s[0:1], 0x48
	s_load_b128 s[4:7], s[0:1], 0x30
	s_load_b64 s[2:3], s[0:1], 0x50
	s_load_b128 s[8:11], s[0:1], 0x18
	s_load_b64 s[0:1], s[0:1], 0x40
	s_waitcnt lgkmcnt(0)
	v_mad_u64_u32 v[3:4], null, s12, v0, 0
	v_mad_u64_u32 v[5:6], null, s13, v0, 0
	s_ashr_i32 s14, s12, 31
	s_ashr_i32 s16, s13, 31
	s_mul_i32 s5, s15, s5
	s_mul_hi_u32 s12, s15, s4
	s_mul_i32 s4, s15, s4
	s_add_i32 s5, s12, s5
	s_delay_alu instid0(VALU_DEP_1)
	v_mov_b32_e32 v1, v6
	s_lshl_b64 s[4:5], s[4:5], 1
	s_mul_i32 s3, s15, s3
	s_add_u32 s8, s8, s4
	s_addc_u32 s9, s9, s5
	v_mad_u64_u32 v[6:7], null, s16, v0, v[1:2]
	v_mad_u64_u32 v[7:8], null, s14, v0, v[4:5]
	s_lshl_b64 s[4:5], s[10:11], 1
	s_mul_hi_u32 s12, s15, s2
	s_add_u32 s4, s4, s8
	s_mul_i32 s2, s15, s2
	s_addc_u32 s5, s5, s9
	s_add_i32 s3, s12, s3
	s_delay_alu instid0(VALU_DEP_1)
	v_mov_b32_e32 v4, v7
	s_lshl_b64 s[2:3], s[2:3], 1
	v_lshlrev_b64 v[0:1], 1, v[5:6]
	s_add_u32 s2, s6, s2
	s_addc_u32 s3, s7, s3
	s_lshl_b64 s[0:1], s[0:1], 1
	v_lshlrev_b64 v[3:4], 1, v[3:4]
	s_add_u32 s0, s0, s2
	s_addc_u32 s1, s1, s3
	v_add_co_u32 v0, vcc_lo, s0, v0
	v_add_co_ci_u32_e32 v1, vcc_lo, s1, v1, vcc_lo
	s_delay_alu instid0(VALU_DEP_3)
	v_add_co_u32 v3, vcc_lo, s4, v3
	v_add_co_ci_u32_e32 v4, vcc_lo, s5, v4, vcc_lo
	global_load_u16 v5, v[0:1], off
	global_load_u16 v3, v[3:4], off
	s_waitcnt vmcnt(0)
	v_fma_mixlo_f16 v2, v2, v3, v5 op_sel_hi:[1,1,1]
	global_store_b16 v[0:1], v2, off
.LBB146_2:
	s_nop 0
	s_sendmsg sendmsg(MSG_DEALLOC_VGPRS)
	s_endpgm
	.section	.rodata,"a",@progbits
	.p2align	6, 0x0
	.amdhsa_kernel _ZL19rocblas_axpy_kernelIiLi256EfPKDF16_S1_PDF16_EviT2_lT3_lT_lT4_lS5_li
		.amdhsa_group_segment_fixed_size 0
		.amdhsa_private_segment_fixed_size 0
		.amdhsa_kernarg_size 92
		.amdhsa_user_sgpr_count 14
		.amdhsa_user_sgpr_dispatch_ptr 0
		.amdhsa_user_sgpr_queue_ptr 0
		.amdhsa_user_sgpr_kernarg_segment_ptr 1
		.amdhsa_user_sgpr_dispatch_id 0
		.amdhsa_user_sgpr_private_segment_size 0
		.amdhsa_wavefront_size32 1
		.amdhsa_uses_dynamic_stack 0
		.amdhsa_enable_private_segment 0
		.amdhsa_system_sgpr_workgroup_id_x 1
		.amdhsa_system_sgpr_workgroup_id_y 0
		.amdhsa_system_sgpr_workgroup_id_z 1
		.amdhsa_system_sgpr_workgroup_info 0
		.amdhsa_system_vgpr_workitem_id 0
		.amdhsa_next_free_vgpr 9
		.amdhsa_next_free_sgpr 17
		.amdhsa_reserve_vcc 1
		.amdhsa_float_round_mode_32 0
		.amdhsa_float_round_mode_16_64 0
		.amdhsa_float_denorm_mode_32 3
		.amdhsa_float_denorm_mode_16_64 3
		.amdhsa_dx10_clamp 1
		.amdhsa_ieee_mode 1
		.amdhsa_fp16_overflow 0
		.amdhsa_workgroup_processor_mode 1
		.amdhsa_memory_ordered 1
		.amdhsa_forward_progress 0
		.amdhsa_shared_vgpr_count 0
		.amdhsa_exception_fp_ieee_invalid_op 0
		.amdhsa_exception_fp_denorm_src 0
		.amdhsa_exception_fp_ieee_div_zero 0
		.amdhsa_exception_fp_ieee_overflow 0
		.amdhsa_exception_fp_ieee_underflow 0
		.amdhsa_exception_fp_ieee_inexact 0
		.amdhsa_exception_int_div_zero 0
	.end_amdhsa_kernel
	.section	.text._ZL19rocblas_axpy_kernelIiLi256EfPKDF16_S1_PDF16_EviT2_lT3_lT_lT4_lS5_li,"axG",@progbits,_ZL19rocblas_axpy_kernelIiLi256EfPKDF16_S1_PDF16_EviT2_lT3_lT_lT4_lS5_li,comdat
.Lfunc_end146:
	.size	_ZL19rocblas_axpy_kernelIiLi256EfPKDF16_S1_PDF16_EviT2_lT3_lT_lT4_lS5_li, .Lfunc_end146-_ZL19rocblas_axpy_kernelIiLi256EfPKDF16_S1_PDF16_EviT2_lT3_lT_lT4_lS5_li
                                        ; -- End function
	.section	.AMDGPU.csdata,"",@progbits
; Kernel info:
; codeLenInByte = 392
; NumSgprs: 19
; NumVgprs: 9
; ScratchSize: 0
; MemoryBound: 0
; FloatMode: 240
; IeeeMode: 1
; LDSByteSize: 0 bytes/workgroup (compile time only)
; SGPRBlocks: 2
; VGPRBlocks: 1
; NumSGPRsForWavesPerEU: 19
; NumVGPRsForWavesPerEU: 9
; Occupancy: 16
; WaveLimiterHint : 0
; COMPUTE_PGM_RSRC2:SCRATCH_EN: 0
; COMPUTE_PGM_RSRC2:USER_SGPR: 14
; COMPUTE_PGM_RSRC2:TRAP_HANDLER: 0
; COMPUTE_PGM_RSRC2:TGID_X_EN: 1
; COMPUTE_PGM_RSRC2:TGID_Y_EN: 0
; COMPUTE_PGM_RSRC2:TGID_Z_EN: 1
; COMPUTE_PGM_RSRC2:TIDIG_COMP_CNT: 0
	.section	.text._ZL19rocblas_axpy_kernelIiLi256EfDF16_PKDF16_PDF16_EviT2_lT3_lT_lT4_lS5_li,"axG",@progbits,_ZL19rocblas_axpy_kernelIiLi256EfDF16_PKDF16_PDF16_EviT2_lT3_lT_lT4_lS5_li,comdat
	.globl	_ZL19rocblas_axpy_kernelIiLi256EfDF16_PKDF16_PDF16_EviT2_lT3_lT_lT4_lS5_li ; -- Begin function _ZL19rocblas_axpy_kernelIiLi256EfDF16_PKDF16_PDF16_EviT2_lT3_lT_lT4_lS5_li
	.p2align	8
	.type	_ZL19rocblas_axpy_kernelIiLi256EfDF16_PKDF16_PDF16_EviT2_lT3_lT_lT4_lS5_li,@function
_ZL19rocblas_axpy_kernelIiLi256EfDF16_PKDF16_PDF16_EviT2_lT3_lT_lT4_lS5_li: ; @_ZL19rocblas_axpy_kernelIiLi256EfDF16_PKDF16_PDF16_EviT2_lT3_lT_lT4_lS5_li
; %bb.0:
	s_load_b64 s[2:3], s[0:1], 0x0
	v_mov_b32_e32 v1, 0
	v_lshl_or_b32 v0, s14, 8, v0
	s_waitcnt lgkmcnt(0)
	s_ashr_i32 s5, s2, 31
	s_mov_b32 s4, s2
	v_cmp_neq_f16_e64 s2, s3, 0
	v_cmp_gt_i64_e32 vcc_lo, s[4:5], v[0:1]
	s_delay_alu instid0(VALU_DEP_2) | instskip(NEXT) | instid1(SALU_CYCLE_1)
	s_and_b32 s2, s2, vcc_lo
	s_and_saveexec_b32 s4, s2
	s_cbranch_execz .LBB147_2
; %bb.1:
	s_clause 0x5
	s_load_b32 s2, s[0:1], 0x20
	s_load_b32 s14, s[0:1], 0x40
	s_load_b128 s[4:7], s[0:1], 0x28
	s_load_b64 s[12:13], s[0:1], 0x48
	s_load_b128 s[8:11], s[0:1], 0x10
	s_load_b64 s[0:1], s[0:1], 0x38
	s_waitcnt lgkmcnt(0)
	v_mad_u64_u32 v[1:2], null, s2, v0, 0
	v_mad_u64_u32 v[3:4], null, s14, v0, 0
	s_ashr_i32 s17, s14, 31
	s_ashr_i32 s16, s2, 31
	s_mul_i32 s2, s15, s5
	s_mul_hi_u32 s5, s15, s4
	s_mul_i32 s4, s15, s4
	s_add_i32 s5, s5, s2
	s_delay_alu instid0(VALU_DEP_1)
	v_mad_u64_u32 v[5:6], null, s17, v0, v[4:5]
	v_mad_u64_u32 v[6:7], null, s16, v0, v[2:3]
	s_lshl_b64 s[4:5], s[4:5], 1
	s_mul_i32 s13, s15, s13
	s_add_u32 s8, s8, s4
	s_addc_u32 s9, s9, s5
	s_lshl_b64 s[4:5], s[10:11], 1
	s_mul_hi_u32 s2, s15, s12
	v_mov_b32_e32 v4, v5
	s_add_u32 s8, s4, s8
	s_mul_i32 s12, s15, s12
	s_addc_u32 s9, s5, s9
	s_add_i32 s13, s2, s13
	v_mov_b32_e32 v2, v6
	s_lshl_b64 s[4:5], s[12:13], 1
	v_lshlrev_b64 v[3:4], 1, v[3:4]
	s_add_u32 s2, s6, s4
	s_addc_u32 s4, s7, s5
	s_lshl_b64 s[0:1], s[0:1], 1
	v_lshlrev_b64 v[0:1], 1, v[1:2]
	s_add_u32 s0, s0, s2
	s_addc_u32 s1, s1, s4
	v_add_co_u32 v2, vcc_lo, s0, v3
	v_add_co_ci_u32_e32 v3, vcc_lo, s1, v4, vcc_lo
	s_delay_alu instid0(VALU_DEP_3)
	v_add_co_u32 v0, vcc_lo, s8, v0
	v_add_co_ci_u32_e32 v1, vcc_lo, s9, v1, vcc_lo
	global_load_u16 v4, v[2:3], off
	global_load_u16 v0, v[0:1], off
	s_waitcnt vmcnt(0)
	v_fma_mixlo_f16 v0, s3, v0, v4 op_sel_hi:[1,1,1]
	global_store_b16 v[2:3], v0, off
.LBB147_2:
	s_nop 0
	s_sendmsg sendmsg(MSG_DEALLOC_VGPRS)
	s_endpgm
	.section	.rodata,"a",@progbits
	.p2align	6, 0x0
	.amdhsa_kernel _ZL19rocblas_axpy_kernelIiLi256EfDF16_PKDF16_PDF16_EviT2_lT3_lT_lT4_lS5_li
		.amdhsa_group_segment_fixed_size 0
		.amdhsa_private_segment_fixed_size 0
		.amdhsa_kernarg_size 84
		.amdhsa_user_sgpr_count 14
		.amdhsa_user_sgpr_dispatch_ptr 0
		.amdhsa_user_sgpr_queue_ptr 0
		.amdhsa_user_sgpr_kernarg_segment_ptr 1
		.amdhsa_user_sgpr_dispatch_id 0
		.amdhsa_user_sgpr_private_segment_size 0
		.amdhsa_wavefront_size32 1
		.amdhsa_uses_dynamic_stack 0
		.amdhsa_enable_private_segment 0
		.amdhsa_system_sgpr_workgroup_id_x 1
		.amdhsa_system_sgpr_workgroup_id_y 0
		.amdhsa_system_sgpr_workgroup_id_z 1
		.amdhsa_system_sgpr_workgroup_info 0
		.amdhsa_system_vgpr_workitem_id 0
		.amdhsa_next_free_vgpr 8
		.amdhsa_next_free_sgpr 18
		.amdhsa_reserve_vcc 1
		.amdhsa_float_round_mode_32 0
		.amdhsa_float_round_mode_16_64 0
		.amdhsa_float_denorm_mode_32 3
		.amdhsa_float_denorm_mode_16_64 3
		.amdhsa_dx10_clamp 1
		.amdhsa_ieee_mode 1
		.amdhsa_fp16_overflow 0
		.amdhsa_workgroup_processor_mode 1
		.amdhsa_memory_ordered 1
		.amdhsa_forward_progress 0
		.amdhsa_shared_vgpr_count 0
		.amdhsa_exception_fp_ieee_invalid_op 0
		.amdhsa_exception_fp_denorm_src 0
		.amdhsa_exception_fp_ieee_div_zero 0
		.amdhsa_exception_fp_ieee_overflow 0
		.amdhsa_exception_fp_ieee_underflow 0
		.amdhsa_exception_fp_ieee_inexact 0
		.amdhsa_exception_int_div_zero 0
	.end_amdhsa_kernel
	.section	.text._ZL19rocblas_axpy_kernelIiLi256EfDF16_PKDF16_PDF16_EviT2_lT3_lT_lT4_lS5_li,"axG",@progbits,_ZL19rocblas_axpy_kernelIiLi256EfDF16_PKDF16_PDF16_EviT2_lT3_lT_lT4_lS5_li,comdat
.Lfunc_end147:
	.size	_ZL19rocblas_axpy_kernelIiLi256EfDF16_PKDF16_PDF16_EviT2_lT3_lT_lT4_lS5_li, .Lfunc_end147-_ZL19rocblas_axpy_kernelIiLi256EfDF16_PKDF16_PDF16_EviT2_lT3_lT_lT4_lS5_li
                                        ; -- End function
	.section	.AMDGPU.csdata,"",@progbits
; Kernel info:
; codeLenInByte = 340
; NumSgprs: 20
; NumVgprs: 8
; ScratchSize: 0
; MemoryBound: 0
; FloatMode: 240
; IeeeMode: 1
; LDSByteSize: 0 bytes/workgroup (compile time only)
; SGPRBlocks: 2
; VGPRBlocks: 0
; NumSGPRsForWavesPerEU: 20
; NumVGPRsForWavesPerEU: 8
; Occupancy: 16
; WaveLimiterHint : 0
; COMPUTE_PGM_RSRC2:SCRATCH_EN: 0
; COMPUTE_PGM_RSRC2:USER_SGPR: 14
; COMPUTE_PGM_RSRC2:TRAP_HANDLER: 0
; COMPUTE_PGM_RSRC2:TGID_X_EN: 1
; COMPUTE_PGM_RSRC2:TGID_Y_EN: 0
; COMPUTE_PGM_RSRC2:TGID_Z_EN: 1
; COMPUTE_PGM_RSRC2:TIDIG_COMP_CNT: 0
	.section	.text._ZL19rocblas_axpy_kernelIlLi256EfPKDF16_S1_PDF16_EviT2_lT3_lT_lT4_lS5_li,"axG",@progbits,_ZL19rocblas_axpy_kernelIlLi256EfPKDF16_S1_PDF16_EviT2_lT3_lT_lT4_lS5_li,comdat
	.globl	_ZL19rocblas_axpy_kernelIlLi256EfPKDF16_S1_PDF16_EviT2_lT3_lT_lT4_lS5_li ; -- Begin function _ZL19rocblas_axpy_kernelIlLi256EfPKDF16_S1_PDF16_EviT2_lT3_lT_lT4_lS5_li
	.p2align	8
	.type	_ZL19rocblas_axpy_kernelIlLi256EfPKDF16_S1_PDF16_EviT2_lT3_lT_lT4_lS5_li,@function
_ZL19rocblas_axpy_kernelIlLi256EfPKDF16_S1_PDF16_EviT2_lT3_lT_lT4_lS5_li: ; @_ZL19rocblas_axpy_kernelIlLi256EfPKDF16_S1_PDF16_EviT2_lT3_lT_lT4_lS5_li
; %bb.0:
	s_clause 0x1
	s_load_b128 s[4:7], s[0:1], 0x8
	s_load_b32 s2, s[0:1], 0x0
	v_mov_b32_e32 v1, 0
	v_lshl_or_b32 v0, s14, 8, v0
	s_waitcnt lgkmcnt(0)
	s_mul_i32 s3, s15, s7
	s_mul_hi_u32 s7, s15, s6
	s_mul_i32 s6, s15, s6
	s_add_i32 s7, s7, s3
	s_ashr_i32 s3, s2, 31
	s_lshl_b64 s[6:7], s[6:7], 1
	v_cmp_gt_i64_e32 vcc_lo, s[2:3], v[0:1]
	s_add_u32 s4, s4, s6
	s_addc_u32 s5, s5, s7
	global_load_u16 v2, v1, s[4:5]
	s_waitcnt vmcnt(0)
	v_cmp_neq_f16_e64 s2, 0, v2
	s_delay_alu instid0(VALU_DEP_1) | instskip(NEXT) | instid1(SALU_CYCLE_1)
	s_and_b32 s2, vcc_lo, s2
	s_and_saveexec_b32 s3, s2
	s_cbranch_execz .LBB148_2
; %bb.1:
	s_clause 0x3
	s_load_b128 s[16:19], s[0:1], 0x20
	s_load_b256 s[4:11], s[0:1], 0x30
	s_load_b64 s[2:3], s[0:1], 0x50
	s_load_b64 s[0:1], s[0:1], 0x18
	s_waitcnt lgkmcnt(0)
	v_mad_u64_u32 v[3:4], null, v0, s18, 0
	v_mad_u64_u32 v[5:6], null, v0, s10, 0
	s_mul_i32 s5, s15, s5
	s_mul_hi_u32 s12, s15, s4
	s_mul_i32 s4, s15, s4
	s_add_i32 s5, s12, s5
	s_mul_i32 s3, s15, s3
	s_lshl_b64 s[4:5], s[4:5], 1
	s_delay_alu instid0(VALU_DEP_1)
	v_mov_b32_e32 v1, v6
	s_add_u32 s4, s0, s4
	s_addc_u32 s5, s1, s5
	s_lshl_b64 s[0:1], s[16:17], 1
	s_mul_hi_u32 s10, s15, s2
	v_mad_u64_u32 v[6:7], null, v0, s11, v[1:2]
	v_mad_u64_u32 v[7:8], null, v0, s19, v[4:5]
	s_add_u32 s4, s0, s4
	s_mul_i32 s2, s15, s2
	s_addc_u32 s5, s1, s5
	s_add_i32 s3, s10, s3
	s_delay_alu instid0(VALU_DEP_2) | instskip(SKIP_1) | instid1(VALU_DEP_2)
	v_lshlrev_b64 v[0:1], 1, v[5:6]
	s_lshl_b64 s[0:1], s[2:3], 1
	v_mov_b32_e32 v4, v7
	s_add_u32 s2, s6, s0
	s_addc_u32 s3, s7, s1
	s_lshl_b64 s[0:1], s[8:9], 1
	s_delay_alu instid0(VALU_DEP_1) | instskip(SKIP_4) | instid1(VALU_DEP_3)
	v_lshlrev_b64 v[3:4], 1, v[3:4]
	s_add_u32 s0, s0, s2
	s_addc_u32 s1, s1, s3
	v_add_co_u32 v0, vcc_lo, s0, v0
	v_add_co_ci_u32_e32 v1, vcc_lo, s1, v1, vcc_lo
	v_add_co_u32 v3, vcc_lo, s4, v3
	v_add_co_ci_u32_e32 v4, vcc_lo, s5, v4, vcc_lo
	global_load_u16 v5, v[0:1], off
	global_load_u16 v3, v[3:4], off
	s_waitcnt vmcnt(0)
	v_fma_mixlo_f16 v2, v2, v3, v5 op_sel_hi:[1,1,1]
	global_store_b16 v[0:1], v2, off
.LBB148_2:
	s_nop 0
	s_sendmsg sendmsg(MSG_DEALLOC_VGPRS)
	s_endpgm
	.section	.rodata,"a",@progbits
	.p2align	6, 0x0
	.amdhsa_kernel _ZL19rocblas_axpy_kernelIlLi256EfPKDF16_S1_PDF16_EviT2_lT3_lT_lT4_lS5_li
		.amdhsa_group_segment_fixed_size 0
		.amdhsa_private_segment_fixed_size 0
		.amdhsa_kernarg_size 92
		.amdhsa_user_sgpr_count 14
		.amdhsa_user_sgpr_dispatch_ptr 0
		.amdhsa_user_sgpr_queue_ptr 0
		.amdhsa_user_sgpr_kernarg_segment_ptr 1
		.amdhsa_user_sgpr_dispatch_id 0
		.amdhsa_user_sgpr_private_segment_size 0
		.amdhsa_wavefront_size32 1
		.amdhsa_uses_dynamic_stack 0
		.amdhsa_enable_private_segment 0
		.amdhsa_system_sgpr_workgroup_id_x 1
		.amdhsa_system_sgpr_workgroup_id_y 0
		.amdhsa_system_sgpr_workgroup_id_z 1
		.amdhsa_system_sgpr_workgroup_info 0
		.amdhsa_system_vgpr_workitem_id 0
		.amdhsa_next_free_vgpr 9
		.amdhsa_next_free_sgpr 20
		.amdhsa_reserve_vcc 1
		.amdhsa_float_round_mode_32 0
		.amdhsa_float_round_mode_16_64 0
		.amdhsa_float_denorm_mode_32 3
		.amdhsa_float_denorm_mode_16_64 3
		.amdhsa_dx10_clamp 1
		.amdhsa_ieee_mode 1
		.amdhsa_fp16_overflow 0
		.amdhsa_workgroup_processor_mode 1
		.amdhsa_memory_ordered 1
		.amdhsa_forward_progress 0
		.amdhsa_shared_vgpr_count 0
		.amdhsa_exception_fp_ieee_invalid_op 0
		.amdhsa_exception_fp_denorm_src 0
		.amdhsa_exception_fp_ieee_div_zero 0
		.amdhsa_exception_fp_ieee_overflow 0
		.amdhsa_exception_fp_ieee_underflow 0
		.amdhsa_exception_fp_ieee_inexact 0
		.amdhsa_exception_int_div_zero 0
	.end_amdhsa_kernel
	.section	.text._ZL19rocblas_axpy_kernelIlLi256EfPKDF16_S1_PDF16_EviT2_lT3_lT_lT4_lS5_li,"axG",@progbits,_ZL19rocblas_axpy_kernelIlLi256EfPKDF16_S1_PDF16_EviT2_lT3_lT_lT4_lS5_li,comdat
.Lfunc_end148:
	.size	_ZL19rocblas_axpy_kernelIlLi256EfPKDF16_S1_PDF16_EviT2_lT3_lT_lT4_lS5_li, .Lfunc_end148-_ZL19rocblas_axpy_kernelIlLi256EfPKDF16_S1_PDF16_EviT2_lT3_lT_lT4_lS5_li
                                        ; -- End function
	.section	.AMDGPU.csdata,"",@progbits
; Kernel info:
; codeLenInByte = 368
; NumSgprs: 22
; NumVgprs: 9
; ScratchSize: 0
; MemoryBound: 0
; FloatMode: 240
; IeeeMode: 1
; LDSByteSize: 0 bytes/workgroup (compile time only)
; SGPRBlocks: 2
; VGPRBlocks: 1
; NumSGPRsForWavesPerEU: 22
; NumVGPRsForWavesPerEU: 9
; Occupancy: 16
; WaveLimiterHint : 0
; COMPUTE_PGM_RSRC2:SCRATCH_EN: 0
; COMPUTE_PGM_RSRC2:USER_SGPR: 14
; COMPUTE_PGM_RSRC2:TRAP_HANDLER: 0
; COMPUTE_PGM_RSRC2:TGID_X_EN: 1
; COMPUTE_PGM_RSRC2:TGID_Y_EN: 0
; COMPUTE_PGM_RSRC2:TGID_Z_EN: 1
; COMPUTE_PGM_RSRC2:TIDIG_COMP_CNT: 0
	.section	.text._ZL19rocblas_axpy_kernelIlLi256EfDF16_PKDF16_PDF16_EviT2_lT3_lT_lT4_lS5_li,"axG",@progbits,_ZL19rocblas_axpy_kernelIlLi256EfDF16_PKDF16_PDF16_EviT2_lT3_lT_lT4_lS5_li,comdat
	.globl	_ZL19rocblas_axpy_kernelIlLi256EfDF16_PKDF16_PDF16_EviT2_lT3_lT_lT4_lS5_li ; -- Begin function _ZL19rocblas_axpy_kernelIlLi256EfDF16_PKDF16_PDF16_EviT2_lT3_lT_lT4_lS5_li
	.p2align	8
	.type	_ZL19rocblas_axpy_kernelIlLi256EfDF16_PKDF16_PDF16_EviT2_lT3_lT_lT4_lS5_li,@function
_ZL19rocblas_axpy_kernelIlLi256EfDF16_PKDF16_PDF16_EviT2_lT3_lT_lT4_lS5_li: ; @_ZL19rocblas_axpy_kernelIlLi256EfDF16_PKDF16_PDF16_EviT2_lT3_lT_lT4_lS5_li
; %bb.0:
	s_load_b64 s[2:3], s[0:1], 0x0
	v_mov_b32_e32 v1, 0
	v_lshl_or_b32 v0, s14, 8, v0
	s_waitcnt lgkmcnt(0)
	s_ashr_i32 s5, s2, 31
	s_mov_b32 s4, s2
	v_cmp_neq_f16_e64 s2, s3, 0
	v_cmp_gt_i64_e32 vcc_lo, s[4:5], v[0:1]
	s_delay_alu instid0(VALU_DEP_2) | instskip(NEXT) | instid1(SALU_CYCLE_1)
	s_and_b32 s2, s2, vcc_lo
	s_and_saveexec_b32 s4, s2
	s_cbranch_execz .LBB149_2
; %bb.1:
	s_clause 0x3
	s_load_b128 s[16:19], s[0:1], 0x18
	s_load_b256 s[4:11], s[0:1], 0x28
	s_load_b64 s[12:13], s[0:1], 0x48
	s_load_b64 s[0:1], s[0:1], 0x10
	s_waitcnt lgkmcnt(0)
	v_mad_u64_u32 v[1:2], null, v0, s18, 0
	v_mad_u64_u32 v[3:4], null, v0, s10, 0
	s_mul_i32 s2, s15, s5
	s_mul_hi_u32 s5, s15, s4
	s_mul_i32 s4, s15, s4
	s_add_i32 s5, s5, s2
	s_mul_i32 s13, s15, s13
	s_lshl_b64 s[4:5], s[4:5], 1
	s_delay_alu instid0(VALU_DEP_1)
	v_mad_u64_u32 v[5:6], null, v0, s11, v[4:5]
	v_mad_u64_u32 v[6:7], null, v0, s19, v[2:3]
	s_add_u32 s4, s0, s4
	s_addc_u32 s5, s1, s5
	s_lshl_b64 s[0:1], s[16:17], 1
	s_mul_hi_u32 s2, s15, s12
	s_delay_alu instid0(VALU_DEP_2)
	v_mov_b32_e32 v4, v5
	s_add_u32 s4, s0, s4
	s_mul_i32 s10, s15, s12
	s_addc_u32 s5, s1, s5
	s_add_i32 s11, s2, s13
	v_mov_b32_e32 v2, v6
	s_lshl_b64 s[0:1], s[10:11], 1
	v_lshlrev_b64 v[3:4], 1, v[3:4]
	s_add_u32 s2, s6, s0
	s_addc_u32 s6, s7, s1
	s_lshl_b64 s[0:1], s[8:9], 1
	v_lshlrev_b64 v[0:1], 1, v[1:2]
	s_add_u32 s0, s0, s2
	s_addc_u32 s1, s1, s6
	v_add_co_u32 v2, vcc_lo, s0, v3
	v_add_co_ci_u32_e32 v3, vcc_lo, s1, v4, vcc_lo
	s_delay_alu instid0(VALU_DEP_3)
	v_add_co_u32 v0, vcc_lo, s4, v0
	v_add_co_ci_u32_e32 v1, vcc_lo, s5, v1, vcc_lo
	global_load_u16 v4, v[2:3], off
	global_load_u16 v0, v[0:1], off
	s_waitcnt vmcnt(0)
	v_fma_mixlo_f16 v0, s3, v0, v4 op_sel_hi:[1,1,1]
	global_store_b16 v[2:3], v0, off
.LBB149_2:
	s_nop 0
	s_sendmsg sendmsg(MSG_DEALLOC_VGPRS)
	s_endpgm
	.section	.rodata,"a",@progbits
	.p2align	6, 0x0
	.amdhsa_kernel _ZL19rocblas_axpy_kernelIlLi256EfDF16_PKDF16_PDF16_EviT2_lT3_lT_lT4_lS5_li
		.amdhsa_group_segment_fixed_size 0
		.amdhsa_private_segment_fixed_size 0
		.amdhsa_kernarg_size 84
		.amdhsa_user_sgpr_count 14
		.amdhsa_user_sgpr_dispatch_ptr 0
		.amdhsa_user_sgpr_queue_ptr 0
		.amdhsa_user_sgpr_kernarg_segment_ptr 1
		.amdhsa_user_sgpr_dispatch_id 0
		.amdhsa_user_sgpr_private_segment_size 0
		.amdhsa_wavefront_size32 1
		.amdhsa_uses_dynamic_stack 0
		.amdhsa_enable_private_segment 0
		.amdhsa_system_sgpr_workgroup_id_x 1
		.amdhsa_system_sgpr_workgroup_id_y 0
		.amdhsa_system_sgpr_workgroup_id_z 1
		.amdhsa_system_sgpr_workgroup_info 0
		.amdhsa_system_vgpr_workitem_id 0
		.amdhsa_next_free_vgpr 8
		.amdhsa_next_free_sgpr 20
		.amdhsa_reserve_vcc 1
		.amdhsa_float_round_mode_32 0
		.amdhsa_float_round_mode_16_64 0
		.amdhsa_float_denorm_mode_32 3
		.amdhsa_float_denorm_mode_16_64 3
		.amdhsa_dx10_clamp 1
		.amdhsa_ieee_mode 1
		.amdhsa_fp16_overflow 0
		.amdhsa_workgroup_processor_mode 1
		.amdhsa_memory_ordered 1
		.amdhsa_forward_progress 0
		.amdhsa_shared_vgpr_count 0
		.amdhsa_exception_fp_ieee_invalid_op 0
		.amdhsa_exception_fp_denorm_src 0
		.amdhsa_exception_fp_ieee_div_zero 0
		.amdhsa_exception_fp_ieee_overflow 0
		.amdhsa_exception_fp_ieee_underflow 0
		.amdhsa_exception_fp_ieee_inexact 0
		.amdhsa_exception_int_div_zero 0
	.end_amdhsa_kernel
	.section	.text._ZL19rocblas_axpy_kernelIlLi256EfDF16_PKDF16_PDF16_EviT2_lT3_lT_lT4_lS5_li,"axG",@progbits,_ZL19rocblas_axpy_kernelIlLi256EfDF16_PKDF16_PDF16_EviT2_lT3_lT_lT4_lS5_li,comdat
.Lfunc_end149:
	.size	_ZL19rocblas_axpy_kernelIlLi256EfDF16_PKDF16_PDF16_EviT2_lT3_lT_lT4_lS5_li, .Lfunc_end149-_ZL19rocblas_axpy_kernelIlLi256EfDF16_PKDF16_PDF16_EviT2_lT3_lT_lT4_lS5_li
                                        ; -- End function
	.section	.AMDGPU.csdata,"",@progbits
; Kernel info:
; codeLenInByte = 320
; NumSgprs: 22
; NumVgprs: 8
; ScratchSize: 0
; MemoryBound: 0
; FloatMode: 240
; IeeeMode: 1
; LDSByteSize: 0 bytes/workgroup (compile time only)
; SGPRBlocks: 2
; VGPRBlocks: 0
; NumSGPRsForWavesPerEU: 22
; NumVGPRsForWavesPerEU: 8
; Occupancy: 16
; WaveLimiterHint : 0
; COMPUTE_PGM_RSRC2:SCRATCH_EN: 0
; COMPUTE_PGM_RSRC2:USER_SGPR: 14
; COMPUTE_PGM_RSRC2:TRAP_HANDLER: 0
; COMPUTE_PGM_RSRC2:TGID_X_EN: 1
; COMPUTE_PGM_RSRC2:TGID_Y_EN: 0
; COMPUTE_PGM_RSRC2:TGID_Z_EN: 1
; COMPUTE_PGM_RSRC2:TIDIG_COMP_CNT: 0
	.section	.text._ZL26rocblas_haxpy_mod_8_kernelILi256EPKfPKDF16_PDF16_EviT0_lT1_llT2_lli,"axG",@progbits,_ZL26rocblas_haxpy_mod_8_kernelILi256EPKfPKDF16_PDF16_EviT0_lT1_llT2_lli,comdat
	.globl	_ZL26rocblas_haxpy_mod_8_kernelILi256EPKfPKDF16_PDF16_EviT0_lT1_llT2_lli ; -- Begin function _ZL26rocblas_haxpy_mod_8_kernelILi256EPKfPKDF16_PDF16_EviT0_lT1_llT2_lli
	.p2align	8
	.type	_ZL26rocblas_haxpy_mod_8_kernelILi256EPKfPKDF16_PDF16_EviT0_lT1_llT2_lli,@function
_ZL26rocblas_haxpy_mod_8_kernelILi256EPKfPKDF16_PDF16_EviT0_lT1_llT2_lli: ; @_ZL26rocblas_haxpy_mod_8_kernelILi256EPKfPKDF16_PDF16_EviT0_lT1_llT2_lli
; %bb.0:
	s_clause 0x1
	s_load_b512 s[16:31], s[0:1], 0x8
	s_load_b32 s2, s[0:1], 0x0
	v_lshl_or_b32 v0, s14, 8, v0
	v_mov_b32_e32 v1, 0
	s_waitcnt lgkmcnt(0)
	s_mul_i32 s0, s15, s19
	s_mul_hi_u32 s1, s15, s18
	s_ashr_i32 s3, s2, 31
	s_add_i32 s1, s1, s0
	s_mul_i32 s0, s15, s18
	v_cmp_gt_i64_e32 vcc_lo, s[2:3], v[0:1]
	s_lshl_b64 s[0:1], s[0:1], 2
	s_delay_alu instid0(SALU_CYCLE_1) | instskip(SKIP_4) | instid1(VALU_DEP_1)
	s_add_u32 s0, s16, s0
	s_addc_u32 s1, s17, s1
	s_load_b32 s0, s[0:1], 0x0
	s_waitcnt lgkmcnt(0)
	v_cmp_neq_f32_e64 s1, s0, 0
	s_and_b32 s1, vcc_lo, s1
	s_delay_alu instid0(SALU_CYCLE_1)
	s_and_saveexec_b32 s2, s1
	s_cbranch_execz .LBB150_2
; %bb.1:
	s_mul_i32 s1, s15, s25
	s_mul_hi_u32 s3, s15, s24
	s_mul_i32 s2, s15, s24
	s_add_i32 s3, s3, s1
	s_mul_i32 s5, s15, s31
	s_lshl_b64 s[2:3], s[2:3], 1
	v_lshlrev_b64 v[0:1], 1, v[0:1]
	s_add_u32 s1, s20, s2
	s_addc_u32 s4, s21, s3
	s_lshl_b64 s[2:3], s[22:23], 1
	s_delay_alu instid0(SALU_CYCLE_1)
	s_add_u32 s1, s2, s1
	s_mul_hi_u32 s2, s15, s30
	s_addc_u32 s4, s3, s4
	s_add_i32 s3, s2, s5
	s_mul_i32 s2, s15, s30
	v_add_co_u32 v2, vcc_lo, s1, v0
	s_lshl_b64 s[2:3], s[2:3], 1
	v_add_co_ci_u32_e32 v3, vcc_lo, s4, v1, vcc_lo
	s_add_u32 s5, s26, s2
	s_addc_u32 s6, s27, s3
	s_lshl_b64 s[2:3], s[28:29], 1
	s_delay_alu instid0(SALU_CYCLE_1)
	s_add_u32 s1, s2, s5
	s_addc_u32 s2, s3, s6
	v_add_co_u32 v0, vcc_lo, s1, v0
	v_add_co_ci_u32_e32 v1, vcc_lo, s2, v1, vcc_lo
	global_load_u16 v2, v[2:3], off
	global_load_u16 v3, v[0:1], off
	s_waitcnt vmcnt(0)
	v_fma_mixlo_f16 v2, s0, v2, v3 op_sel_hi:[0,1,1]
	global_store_b16 v[0:1], v2, off
.LBB150_2:
	s_nop 0
	s_sendmsg sendmsg(MSG_DEALLOC_VGPRS)
	s_endpgm
	.section	.rodata,"a",@progbits
	.p2align	6, 0x0
	.amdhsa_kernel _ZL26rocblas_haxpy_mod_8_kernelILi256EPKfPKDF16_PDF16_EviT0_lT1_llT2_lli
		.amdhsa_group_segment_fixed_size 0
		.amdhsa_private_segment_fixed_size 0
		.amdhsa_kernarg_size 76
		.amdhsa_user_sgpr_count 14
		.amdhsa_user_sgpr_dispatch_ptr 0
		.amdhsa_user_sgpr_queue_ptr 0
		.amdhsa_user_sgpr_kernarg_segment_ptr 1
		.amdhsa_user_sgpr_dispatch_id 0
		.amdhsa_user_sgpr_private_segment_size 0
		.amdhsa_wavefront_size32 1
		.amdhsa_uses_dynamic_stack 0
		.amdhsa_enable_private_segment 0
		.amdhsa_system_sgpr_workgroup_id_x 1
		.amdhsa_system_sgpr_workgroup_id_y 0
		.amdhsa_system_sgpr_workgroup_id_z 1
		.amdhsa_system_sgpr_workgroup_info 0
		.amdhsa_system_vgpr_workitem_id 0
		.amdhsa_next_free_vgpr 4
		.amdhsa_next_free_sgpr 32
		.amdhsa_reserve_vcc 1
		.amdhsa_float_round_mode_32 0
		.amdhsa_float_round_mode_16_64 0
		.amdhsa_float_denorm_mode_32 3
		.amdhsa_float_denorm_mode_16_64 3
		.amdhsa_dx10_clamp 1
		.amdhsa_ieee_mode 1
		.amdhsa_fp16_overflow 0
		.amdhsa_workgroup_processor_mode 1
		.amdhsa_memory_ordered 1
		.amdhsa_forward_progress 0
		.amdhsa_shared_vgpr_count 0
		.amdhsa_exception_fp_ieee_invalid_op 0
		.amdhsa_exception_fp_denorm_src 0
		.amdhsa_exception_fp_ieee_div_zero 0
		.amdhsa_exception_fp_ieee_overflow 0
		.amdhsa_exception_fp_ieee_underflow 0
		.amdhsa_exception_fp_ieee_inexact 0
		.amdhsa_exception_int_div_zero 0
	.end_amdhsa_kernel
	.section	.text._ZL26rocblas_haxpy_mod_8_kernelILi256EPKfPKDF16_PDF16_EviT0_lT1_llT2_lli,"axG",@progbits,_ZL26rocblas_haxpy_mod_8_kernelILi256EPKfPKDF16_PDF16_EviT0_lT1_llT2_lli,comdat
.Lfunc_end150:
	.size	_ZL26rocblas_haxpy_mod_8_kernelILi256EPKfPKDF16_PDF16_EviT0_lT1_llT2_lli, .Lfunc_end150-_ZL26rocblas_haxpy_mod_8_kernelILi256EPKfPKDF16_PDF16_EviT0_lT1_llT2_lli
                                        ; -- End function
	.section	.AMDGPU.csdata,"",@progbits
; Kernel info:
; codeLenInByte = 280
; NumSgprs: 34
; NumVgprs: 4
; ScratchSize: 0
; MemoryBound: 0
; FloatMode: 240
; IeeeMode: 1
; LDSByteSize: 0 bytes/workgroup (compile time only)
; SGPRBlocks: 4
; VGPRBlocks: 0
; NumSGPRsForWavesPerEU: 34
; NumVGPRsForWavesPerEU: 4
; Occupancy: 16
; WaveLimiterHint : 0
; COMPUTE_PGM_RSRC2:SCRATCH_EN: 0
; COMPUTE_PGM_RSRC2:USER_SGPR: 14
; COMPUTE_PGM_RSRC2:TRAP_HANDLER: 0
; COMPUTE_PGM_RSRC2:TGID_X_EN: 1
; COMPUTE_PGM_RSRC2:TGID_Y_EN: 0
; COMPUTE_PGM_RSRC2:TGID_Z_EN: 1
; COMPUTE_PGM_RSRC2:TIDIG_COMP_CNT: 0
	.section	.text._ZL26rocblas_haxpy_mod_8_kernelILi256EfPKDF16_PDF16_EviT0_lT1_llT2_lli,"axG",@progbits,_ZL26rocblas_haxpy_mod_8_kernelILi256EfPKDF16_PDF16_EviT0_lT1_llT2_lli,comdat
	.globl	_ZL26rocblas_haxpy_mod_8_kernelILi256EfPKDF16_PDF16_EviT0_lT1_llT2_lli ; -- Begin function _ZL26rocblas_haxpy_mod_8_kernelILi256EfPKDF16_PDF16_EviT0_lT1_llT2_lli
	.p2align	8
	.type	_ZL26rocblas_haxpy_mod_8_kernelILi256EfPKDF16_PDF16_EviT0_lT1_llT2_lli,@function
_ZL26rocblas_haxpy_mod_8_kernelILi256EfPKDF16_PDF16_EviT0_lT1_llT2_lli: ; @_ZL26rocblas_haxpy_mod_8_kernelILi256EfPKDF16_PDF16_EviT0_lT1_llT2_lli
; %bb.0:
	s_load_b64 s[2:3], s[0:1], 0x0
	v_mov_b32_e32 v1, 0
	v_lshl_or_b32 v0, s14, 8, v0
	s_waitcnt lgkmcnt(0)
	s_ashr_i32 s5, s2, 31
	s_mov_b32 s4, s2
	v_cmp_neq_f32_e64 s2, s3, 0
	v_cmp_gt_i64_e32 vcc_lo, s[4:5], v[0:1]
	s_delay_alu instid0(VALU_DEP_2) | instskip(NEXT) | instid1(SALU_CYCLE_1)
	s_and_b32 s2, s2, vcc_lo
	s_and_saveexec_b32 s4, s2
	s_cbranch_execz .LBB151_2
; %bb.1:
	s_clause 0x1
	s_load_b256 s[4:11], s[0:1], 0x10
	s_load_b128 s[16:19], s[0:1], 0x30
	v_lshlrev_b64 v[0:1], 1, v[0:1]
	s_waitcnt lgkmcnt(0)
	s_mul_i32 s1, s15, s9
	s_mul_hi_u32 s2, s15, s8
	s_mul_i32 s0, s15, s8
	s_add_i32 s1, s2, s1
	s_mul_i32 s2, s15, s19
	s_lshl_b64 s[0:1], s[0:1], 1
	s_mul_hi_u32 s8, s15, s18
	s_add_u32 s9, s4, s0
	s_addc_u32 s5, s5, s1
	s_lshl_b64 s[0:1], s[6:7], 1
	s_mul_i32 s4, s15, s18
	s_add_u32 s6, s0, s9
	s_addc_u32 s7, s1, s5
	s_add_i32 s5, s8, s2
	v_add_co_u32 v2, vcc_lo, s6, v0
	s_lshl_b64 s[0:1], s[4:5], 1
	v_add_co_ci_u32_e32 v3, vcc_lo, s7, v1, vcc_lo
	s_add_u32 s2, s10, s0
	s_addc_u32 s4, s11, s1
	s_lshl_b64 s[0:1], s[16:17], 1
	s_delay_alu instid0(SALU_CYCLE_1)
	s_add_u32 s0, s0, s2
	s_addc_u32 s1, s1, s4
	v_add_co_u32 v0, vcc_lo, s0, v0
	v_add_co_ci_u32_e32 v1, vcc_lo, s1, v1, vcc_lo
	global_load_u16 v2, v[2:3], off
	global_load_u16 v3, v[0:1], off
	s_waitcnt vmcnt(0)
	v_fma_mixlo_f16 v2, v2, s3, v3 op_sel_hi:[1,0,1]
	global_store_b16 v[0:1], v2, off
.LBB151_2:
	s_nop 0
	s_sendmsg sendmsg(MSG_DEALLOC_VGPRS)
	s_endpgm
	.section	.rodata,"a",@progbits
	.p2align	6, 0x0
	.amdhsa_kernel _ZL26rocblas_haxpy_mod_8_kernelILi256EfPKDF16_PDF16_EviT0_lT1_llT2_lli
		.amdhsa_group_segment_fixed_size 0
		.amdhsa_private_segment_fixed_size 0
		.amdhsa_kernarg_size 68
		.amdhsa_user_sgpr_count 14
		.amdhsa_user_sgpr_dispatch_ptr 0
		.amdhsa_user_sgpr_queue_ptr 0
		.amdhsa_user_sgpr_kernarg_segment_ptr 1
		.amdhsa_user_sgpr_dispatch_id 0
		.amdhsa_user_sgpr_private_segment_size 0
		.amdhsa_wavefront_size32 1
		.amdhsa_uses_dynamic_stack 0
		.amdhsa_enable_private_segment 0
		.amdhsa_system_sgpr_workgroup_id_x 1
		.amdhsa_system_sgpr_workgroup_id_y 0
		.amdhsa_system_sgpr_workgroup_id_z 1
		.amdhsa_system_sgpr_workgroup_info 0
		.amdhsa_system_vgpr_workitem_id 0
		.amdhsa_next_free_vgpr 4
		.amdhsa_next_free_sgpr 20
		.amdhsa_reserve_vcc 1
		.amdhsa_float_round_mode_32 0
		.amdhsa_float_round_mode_16_64 0
		.amdhsa_float_denorm_mode_32 3
		.amdhsa_float_denorm_mode_16_64 3
		.amdhsa_dx10_clamp 1
		.amdhsa_ieee_mode 1
		.amdhsa_fp16_overflow 0
		.amdhsa_workgroup_processor_mode 1
		.amdhsa_memory_ordered 1
		.amdhsa_forward_progress 0
		.amdhsa_shared_vgpr_count 0
		.amdhsa_exception_fp_ieee_invalid_op 0
		.amdhsa_exception_fp_denorm_src 0
		.amdhsa_exception_fp_ieee_div_zero 0
		.amdhsa_exception_fp_ieee_overflow 0
		.amdhsa_exception_fp_ieee_underflow 0
		.amdhsa_exception_fp_ieee_inexact 0
		.amdhsa_exception_int_div_zero 0
	.end_amdhsa_kernel
	.section	.text._ZL26rocblas_haxpy_mod_8_kernelILi256EfPKDF16_PDF16_EviT0_lT1_llT2_lli,"axG",@progbits,_ZL26rocblas_haxpy_mod_8_kernelILi256EfPKDF16_PDF16_EviT0_lT1_llT2_lli,comdat
.Lfunc_end151:
	.size	_ZL26rocblas_haxpy_mod_8_kernelILi256EfPKDF16_PDF16_EviT0_lT1_llT2_lli, .Lfunc_end151-_ZL26rocblas_haxpy_mod_8_kernelILi256EfPKDF16_PDF16_EviT0_lT1_llT2_lli
                                        ; -- End function
	.section	.AMDGPU.csdata,"",@progbits
; Kernel info:
; codeLenInByte = 248
; NumSgprs: 22
; NumVgprs: 4
; ScratchSize: 0
; MemoryBound: 0
; FloatMode: 240
; IeeeMode: 1
; LDSByteSize: 0 bytes/workgroup (compile time only)
; SGPRBlocks: 2
; VGPRBlocks: 0
; NumSGPRsForWavesPerEU: 22
; NumVGPRsForWavesPerEU: 4
; Occupancy: 16
; WaveLimiterHint : 0
; COMPUTE_PGM_RSRC2:SCRATCH_EN: 0
; COMPUTE_PGM_RSRC2:USER_SGPR: 14
; COMPUTE_PGM_RSRC2:TRAP_HANDLER: 0
; COMPUTE_PGM_RSRC2:TGID_X_EN: 1
; COMPUTE_PGM_RSRC2:TGID_Y_EN: 0
; COMPUTE_PGM_RSRC2:TGID_Z_EN: 1
; COMPUTE_PGM_RSRC2:TIDIG_COMP_CNT: 0
	.section	.text._ZL22rocblas_saxpy_2_kernelILi256EfPKfPKDF16_PDF16_EviT1_lT2_llT3_lli,"axG",@progbits,_ZL22rocblas_saxpy_2_kernelILi256EfPKfPKDF16_PDF16_EviT1_lT2_llT3_lli,comdat
	.globl	_ZL22rocblas_saxpy_2_kernelILi256EfPKfPKDF16_PDF16_EviT1_lT2_llT3_lli ; -- Begin function _ZL22rocblas_saxpy_2_kernelILi256EfPKfPKDF16_PDF16_EviT1_lT2_llT3_lli
	.p2align	8
	.type	_ZL22rocblas_saxpy_2_kernelILi256EfPKfPKDF16_PDF16_EviT1_lT2_llT3_lli,@function
_ZL22rocblas_saxpy_2_kernelILi256EfPKfPKDF16_PDF16_EviT1_lT2_llT3_lli: ; @_ZL22rocblas_saxpy_2_kernelILi256EfPKfPKDF16_PDF16_EviT1_lT2_llT3_lli
; %bb.0:
	s_load_b128 s[4:7], s[0:1], 0x8
	s_waitcnt lgkmcnt(0)
	s_mul_i32 s2, s15, s7
	s_mul_hi_u32 s3, s15, s6
	s_delay_alu instid0(SALU_CYCLE_1) | instskip(SKIP_1) | instid1(SALU_CYCLE_1)
	s_add_i32 s3, s3, s2
	s_mul_i32 s2, s15, s6
	s_lshl_b64 s[2:3], s[2:3], 2
	s_delay_alu instid0(SALU_CYCLE_1) | instskip(SKIP_4) | instid1(VALU_DEP_1)
	s_add_u32 s2, s4, s2
	s_addc_u32 s3, s5, s3
	s_load_b32 s2, s[2:3], 0x0
	s_waitcnt lgkmcnt(0)
	v_cmp_eq_f32_e64 s3, s2, 0
	s_and_b32 vcc_lo, exec_lo, s3
	s_cbranch_vccnz .LBB152_5
; %bb.1:
	s_clause 0x4
	s_load_b128 s[4:7], s[0:1], 0x20
	s_load_b128 s[8:11], s[0:1], 0x38
	s_load_b64 s[12:13], s[0:1], 0x18
	s_load_b64 s[16:17], s[0:1], 0x30
	s_load_b32 s3, s[0:1], 0x0
	v_dual_mov_b32 v3, 0 :: v_dual_lshlrev_b32 v0, 1, v0
	s_delay_alu instid0(VALU_DEP_1) | instskip(NEXT) | instid1(VALU_DEP_1)
	v_lshl_or_b32 v2, s14, 9, v0
	v_lshlrev_b64 v[0:1], 1, v[2:3]
	s_waitcnt lgkmcnt(0)
	s_mul_i32 s1, s15, s7
	s_mul_hi_u32 s7, s15, s6
	s_mul_i32 s0, s15, s6
	s_add_i32 s1, s7, s1
	s_mul_i32 s7, s15, s11
	s_lshl_b64 s[0:1], s[0:1], 1
	s_mul_hi_u32 s11, s15, s10
	s_add_u32 s12, s12, s0
	s_addc_u32 s13, s13, s1
	s_lshl_b64 s[0:1], s[4:5], 1
	s_mul_i32 s6, s15, s10
	s_add_u32 s4, s12, s0
	s_addc_u32 s5, s13, s1
	s_add_i32 s7, s11, s7
	s_delay_alu instid0(SALU_CYCLE_1) | instskip(NEXT) | instid1(SALU_CYCLE_1)
	s_lshl_b64 s[0:1], s[6:7], 1
	s_add_u32 s6, s16, s0
	s_addc_u32 s7, s17, s1
	s_lshl_b64 s[0:1], s[8:9], 1
	s_mov_b32 s8, exec_lo
	s_add_u32 s6, s6, s0
	s_addc_u32 s7, s7, s1
	s_add_i32 s0, s3, -1
	s_delay_alu instid0(SALU_CYCLE_1) | instskip(NEXT) | instid1(SALU_CYCLE_1)
	s_ashr_i32 s1, s0, 31
	v_cmpx_gt_i64_e64 s[0:1], v[2:3]
	s_cbranch_execz .LBB152_3
; %bb.2:
	v_add_co_u32 v4, vcc_lo, s6, v0
	v_add_co_ci_u32_e32 v5, vcc_lo, s7, v1, vcc_lo
	v_add_co_u32 v6, vcc_lo, s4, v0
	v_add_co_ci_u32_e32 v7, vcc_lo, s5, v1, vcc_lo
	global_load_b32 v8, v[4:5], off
	global_load_b32 v6, v[6:7], off
	s_waitcnt vmcnt(0)
	v_fma_mixlo_f16 v7, s2, v6, v8 op_sel_hi:[0,1,1]
	s_delay_alu instid0(VALU_DEP_1)
	v_fma_mixhi_f16 v7, s2, v6, v8 op_sel:[0,1,1] op_sel_hi:[0,1,1]
	global_store_b32 v[4:5], v7, off
.LBB152_3:
	s_or_b32 exec_lo, exec_lo, s8
	v_cmp_eq_u64_e32 vcc_lo, s[0:1], v[2:3]
	s_bitcmp1_b32 s3, 0
	s_cselect_b32 s0, -1, 0
	s_delay_alu instid0(SALU_CYCLE_1) | instskip(NEXT) | instid1(SALU_CYCLE_1)
	s_and_b32 s0, s0, vcc_lo
	s_and_saveexec_b32 s1, s0
	s_cbranch_execz .LBB152_5
; %bb.4:
	v_add_co_u32 v2, vcc_lo, s6, v0
	v_add_co_ci_u32_e32 v3, vcc_lo, s7, v1, vcc_lo
	v_add_co_u32 v0, vcc_lo, s4, v0
	v_add_co_ci_u32_e32 v1, vcc_lo, s5, v1, vcc_lo
	global_load_u16 v4, v[2:3], off
	global_load_u16 v0, v[0:1], off
	s_waitcnt vmcnt(0)
	v_fma_mixlo_f16 v0, s2, v0, v4 op_sel_hi:[0,1,1]
	global_store_b16 v[2:3], v0, off
.LBB152_5:
	s_nop 0
	s_sendmsg sendmsg(MSG_DEALLOC_VGPRS)
	s_endpgm
	.section	.rodata,"a",@progbits
	.p2align	6, 0x0
	.amdhsa_kernel _ZL22rocblas_saxpy_2_kernelILi256EfPKfPKDF16_PDF16_EviT1_lT2_llT3_lli
		.amdhsa_group_segment_fixed_size 0
		.amdhsa_private_segment_fixed_size 0
		.amdhsa_kernarg_size 76
		.amdhsa_user_sgpr_count 14
		.amdhsa_user_sgpr_dispatch_ptr 0
		.amdhsa_user_sgpr_queue_ptr 0
		.amdhsa_user_sgpr_kernarg_segment_ptr 1
		.amdhsa_user_sgpr_dispatch_id 0
		.amdhsa_user_sgpr_private_segment_size 0
		.amdhsa_wavefront_size32 1
		.amdhsa_uses_dynamic_stack 0
		.amdhsa_enable_private_segment 0
		.amdhsa_system_sgpr_workgroup_id_x 1
		.amdhsa_system_sgpr_workgroup_id_y 0
		.amdhsa_system_sgpr_workgroup_id_z 1
		.amdhsa_system_sgpr_workgroup_info 0
		.amdhsa_system_vgpr_workitem_id 0
		.amdhsa_next_free_vgpr 9
		.amdhsa_next_free_sgpr 18
		.amdhsa_reserve_vcc 1
		.amdhsa_float_round_mode_32 0
		.amdhsa_float_round_mode_16_64 0
		.amdhsa_float_denorm_mode_32 3
		.amdhsa_float_denorm_mode_16_64 3
		.amdhsa_dx10_clamp 1
		.amdhsa_ieee_mode 1
		.amdhsa_fp16_overflow 0
		.amdhsa_workgroup_processor_mode 1
		.amdhsa_memory_ordered 1
		.amdhsa_forward_progress 0
		.amdhsa_shared_vgpr_count 0
		.amdhsa_exception_fp_ieee_invalid_op 0
		.amdhsa_exception_fp_denorm_src 0
		.amdhsa_exception_fp_ieee_div_zero 0
		.amdhsa_exception_fp_ieee_overflow 0
		.amdhsa_exception_fp_ieee_underflow 0
		.amdhsa_exception_fp_ieee_inexact 0
		.amdhsa_exception_int_div_zero 0
	.end_amdhsa_kernel
	.section	.text._ZL22rocblas_saxpy_2_kernelILi256EfPKfPKDF16_PDF16_EviT1_lT2_llT3_lli,"axG",@progbits,_ZL22rocblas_saxpy_2_kernelILi256EfPKfPKDF16_PDF16_EviT1_lT2_llT3_lli,comdat
.Lfunc_end152:
	.size	_ZL22rocblas_saxpy_2_kernelILi256EfPKfPKDF16_PDF16_EviT1_lT2_llT3_lli, .Lfunc_end152-_ZL22rocblas_saxpy_2_kernelILi256EfPKfPKDF16_PDF16_EviT1_lT2_llT3_lli
                                        ; -- End function
	.section	.AMDGPU.csdata,"",@progbits
; Kernel info:
; codeLenInByte = 440
; NumSgprs: 20
; NumVgprs: 9
; ScratchSize: 0
; MemoryBound: 0
; FloatMode: 240
; IeeeMode: 1
; LDSByteSize: 0 bytes/workgroup (compile time only)
; SGPRBlocks: 2
; VGPRBlocks: 1
; NumSGPRsForWavesPerEU: 20
; NumVGPRsForWavesPerEU: 9
; Occupancy: 16
; WaveLimiterHint : 0
; COMPUTE_PGM_RSRC2:SCRATCH_EN: 0
; COMPUTE_PGM_RSRC2:USER_SGPR: 14
; COMPUTE_PGM_RSRC2:TRAP_HANDLER: 0
; COMPUTE_PGM_RSRC2:TGID_X_EN: 1
; COMPUTE_PGM_RSRC2:TGID_Y_EN: 0
; COMPUTE_PGM_RSRC2:TGID_Z_EN: 1
; COMPUTE_PGM_RSRC2:TIDIG_COMP_CNT: 0
	.section	.text._ZL22rocblas_saxpy_2_kernelILi256EffPKDF16_PDF16_EviT1_lT2_llT3_lli,"axG",@progbits,_ZL22rocblas_saxpy_2_kernelILi256EffPKDF16_PDF16_EviT1_lT2_llT3_lli,comdat
	.globl	_ZL22rocblas_saxpy_2_kernelILi256EffPKDF16_PDF16_EviT1_lT2_llT3_lli ; -- Begin function _ZL22rocblas_saxpy_2_kernelILi256EffPKDF16_PDF16_EviT1_lT2_llT3_lli
	.p2align	8
	.type	_ZL22rocblas_saxpy_2_kernelILi256EffPKDF16_PDF16_EviT1_lT2_llT3_lli,@function
_ZL22rocblas_saxpy_2_kernelILi256EffPKDF16_PDF16_EviT1_lT2_llT3_lli: ; @_ZL22rocblas_saxpy_2_kernelILi256EffPKDF16_PDF16_EviT1_lT2_llT3_lli
; %bb.0:
	s_load_b64 s[2:3], s[0:1], 0x0
	s_waitcnt lgkmcnt(0)
	v_cmp_eq_f32_e64 s4, s3, 0
	s_delay_alu instid0(VALU_DEP_1)
	s_and_b32 vcc_lo, exec_lo, s4
	s_cbranch_vccnz .LBB153_5
; %bb.1:
	s_clause 0x3
	s_load_b128 s[4:7], s[0:1], 0x18
	s_load_b128 s[8:11], s[0:1], 0x30
	s_load_b64 s[12:13], s[0:1], 0x10
	s_load_b64 s[0:1], s[0:1], 0x28
	v_dual_mov_b32 v3, 0 :: v_dual_lshlrev_b32 v0, 1, v0
	s_delay_alu instid0(VALU_DEP_1) | instskip(NEXT) | instid1(VALU_DEP_1)
	v_lshl_or_b32 v2, s14, 9, v0
	v_lshlrev_b64 v[0:1], 1, v[2:3]
	s_waitcnt lgkmcnt(0)
	s_mul_i32 s7, s15, s7
	s_mul_hi_u32 s16, s15, s6
	s_mul_i32 s6, s15, s6
	s_add_i32 s7, s16, s7
	s_mul_i32 s11, s15, s11
	s_lshl_b64 s[6:7], s[6:7], 1
	s_mul_hi_u32 s16, s15, s10
	s_add_u32 s12, s12, s6
	s_addc_u32 s7, s13, s7
	s_lshl_b64 s[4:5], s[4:5], 1
	s_mul_i32 s6, s15, s10
	s_add_u32 s4, s12, s4
	s_addc_u32 s5, s7, s5
	s_add_i32 s7, s16, s11
	s_delay_alu instid0(SALU_CYCLE_1) | instskip(NEXT) | instid1(SALU_CYCLE_1)
	s_lshl_b64 s[6:7], s[6:7], 1
	s_add_u32 s6, s0, s6
	s_addc_u32 s7, s1, s7
	s_lshl_b64 s[0:1], s[8:9], 1
	s_mov_b32 s8, exec_lo
	s_add_u32 s6, s6, s0
	s_addc_u32 s7, s7, s1
	s_add_i32 s0, s2, -1
	s_delay_alu instid0(SALU_CYCLE_1) | instskip(NEXT) | instid1(SALU_CYCLE_1)
	s_ashr_i32 s1, s0, 31
	v_cmpx_gt_i64_e64 s[0:1], v[2:3]
	s_cbranch_execz .LBB153_3
; %bb.2:
	v_add_co_u32 v4, vcc_lo, s6, v0
	v_add_co_ci_u32_e32 v5, vcc_lo, s7, v1, vcc_lo
	v_add_co_u32 v6, vcc_lo, s4, v0
	v_add_co_ci_u32_e32 v7, vcc_lo, s5, v1, vcc_lo
	global_load_b32 v8, v[4:5], off
	global_load_b32 v6, v[6:7], off
	s_waitcnt vmcnt(0)
	v_fma_mixlo_f16 v7, s3, v6, v8 op_sel_hi:[0,1,1]
	s_delay_alu instid0(VALU_DEP_1)
	v_fma_mixhi_f16 v7, s3, v6, v8 op_sel:[0,1,1] op_sel_hi:[0,1,1]
	global_store_b32 v[4:5], v7, off
.LBB153_3:
	s_or_b32 exec_lo, exec_lo, s8
	v_cmp_eq_u64_e32 vcc_lo, s[0:1], v[2:3]
	s_bitcmp1_b32 s2, 0
	s_cselect_b32 s0, -1, 0
	s_delay_alu instid0(SALU_CYCLE_1) | instskip(NEXT) | instid1(SALU_CYCLE_1)
	s_and_b32 s0, s0, vcc_lo
	s_and_saveexec_b32 s1, s0
	s_cbranch_execz .LBB153_5
; %bb.4:
	v_add_co_u32 v2, vcc_lo, s6, v0
	v_add_co_ci_u32_e32 v3, vcc_lo, s7, v1, vcc_lo
	v_add_co_u32 v0, vcc_lo, s4, v0
	v_add_co_ci_u32_e32 v1, vcc_lo, s5, v1, vcc_lo
	global_load_u16 v4, v[2:3], off
	global_load_u16 v0, v[0:1], off
	s_waitcnt vmcnt(0)
	v_fma_mixlo_f16 v0, v0, s3, v4 op_sel_hi:[1,0,1]
	global_store_b16 v[2:3], v0, off
.LBB153_5:
	s_nop 0
	s_sendmsg sendmsg(MSG_DEALLOC_VGPRS)
	s_endpgm
	.section	.rodata,"a",@progbits
	.p2align	6, 0x0
	.amdhsa_kernel _ZL22rocblas_saxpy_2_kernelILi256EffPKDF16_PDF16_EviT1_lT2_llT3_lli
		.amdhsa_group_segment_fixed_size 0
		.amdhsa_private_segment_fixed_size 0
		.amdhsa_kernarg_size 68
		.amdhsa_user_sgpr_count 14
		.amdhsa_user_sgpr_dispatch_ptr 0
		.amdhsa_user_sgpr_queue_ptr 0
		.amdhsa_user_sgpr_kernarg_segment_ptr 1
		.amdhsa_user_sgpr_dispatch_id 0
		.amdhsa_user_sgpr_private_segment_size 0
		.amdhsa_wavefront_size32 1
		.amdhsa_uses_dynamic_stack 0
		.amdhsa_enable_private_segment 0
		.amdhsa_system_sgpr_workgroup_id_x 1
		.amdhsa_system_sgpr_workgroup_id_y 0
		.amdhsa_system_sgpr_workgroup_id_z 1
		.amdhsa_system_sgpr_workgroup_info 0
		.amdhsa_system_vgpr_workitem_id 0
		.amdhsa_next_free_vgpr 9
		.amdhsa_next_free_sgpr 17
		.amdhsa_reserve_vcc 1
		.amdhsa_float_round_mode_32 0
		.amdhsa_float_round_mode_16_64 0
		.amdhsa_float_denorm_mode_32 3
		.amdhsa_float_denorm_mode_16_64 3
		.amdhsa_dx10_clamp 1
		.amdhsa_ieee_mode 1
		.amdhsa_fp16_overflow 0
		.amdhsa_workgroup_processor_mode 1
		.amdhsa_memory_ordered 1
		.amdhsa_forward_progress 0
		.amdhsa_shared_vgpr_count 0
		.amdhsa_exception_fp_ieee_invalid_op 0
		.amdhsa_exception_fp_denorm_src 0
		.amdhsa_exception_fp_ieee_div_zero 0
		.amdhsa_exception_fp_ieee_overflow 0
		.amdhsa_exception_fp_ieee_underflow 0
		.amdhsa_exception_fp_ieee_inexact 0
		.amdhsa_exception_int_div_zero 0
	.end_amdhsa_kernel
	.section	.text._ZL22rocblas_saxpy_2_kernelILi256EffPKDF16_PDF16_EviT1_lT2_llT3_lli,"axG",@progbits,_ZL22rocblas_saxpy_2_kernelILi256EffPKDF16_PDF16_EviT1_lT2_llT3_lli,comdat
.Lfunc_end153:
	.size	_ZL22rocblas_saxpy_2_kernelILi256EffPKDF16_PDF16_EviT1_lT2_llT3_lli, .Lfunc_end153-_ZL22rocblas_saxpy_2_kernelILi256EffPKDF16_PDF16_EviT1_lT2_llT3_lli
                                        ; -- End function
	.section	.AMDGPU.csdata,"",@progbits
; Kernel info:
; codeLenInByte = 388
; NumSgprs: 19
; NumVgprs: 9
; ScratchSize: 0
; MemoryBound: 0
; FloatMode: 240
; IeeeMode: 1
; LDSByteSize: 0 bytes/workgroup (compile time only)
; SGPRBlocks: 2
; VGPRBlocks: 1
; NumSGPRsForWavesPerEU: 19
; NumVGPRsForWavesPerEU: 9
; Occupancy: 16
; WaveLimiterHint : 0
; COMPUTE_PGM_RSRC2:SCRATCH_EN: 0
; COMPUTE_PGM_RSRC2:USER_SGPR: 14
; COMPUTE_PGM_RSRC2:TRAP_HANDLER: 0
; COMPUTE_PGM_RSRC2:TGID_X_EN: 1
; COMPUTE_PGM_RSRC2:TGID_Y_EN: 0
; COMPUTE_PGM_RSRC2:TGID_Z_EN: 1
; COMPUTE_PGM_RSRC2:TIDIG_COMP_CNT: 0
	.section	.text._ZL27rocblas_axpy_kernel_batchedIiLi128ELi8EfPKfPKDF16_PDF16_EviT3_lT4_lT_lT5_lS7_li,"axG",@progbits,_ZL27rocblas_axpy_kernel_batchedIiLi128ELi8EfPKfPKDF16_PDF16_EviT3_lT4_lT_lT5_lS7_li,comdat
	.globl	_ZL27rocblas_axpy_kernel_batchedIiLi128ELi8EfPKfPKDF16_PDF16_EviT3_lT4_lT_lT5_lS7_li ; -- Begin function _ZL27rocblas_axpy_kernel_batchedIiLi128ELi8EfPKfPKDF16_PDF16_EviT3_lT4_lT_lT5_lS7_li
	.p2align	8
	.type	_ZL27rocblas_axpy_kernel_batchedIiLi128ELi8EfPKfPKDF16_PDF16_EviT3_lT4_lT_lT5_lS7_li,@function
_ZL27rocblas_axpy_kernel_batchedIiLi128ELi8EfPKfPKDF16_PDF16_EviT3_lT4_lT_lT5_lS7_li: ; @_ZL27rocblas_axpy_kernel_batchedIiLi128ELi8EfPKfPKDF16_PDF16_EviT3_lT4_lT_lT5_lS7_li
; %bb.0:
	s_load_b32 s2, s[0:1], 0x0
	v_dual_mov_b32 v2, 0 :: v_dual_and_b32 v1, 0x3ff, v0
	s_delay_alu instid0(VALU_DEP_1)
	v_lshl_add_u32 v1, s14, 7, v1
	s_waitcnt lgkmcnt(0)
	s_ashr_i32 s3, s2, 31
	s_delay_alu instid0(VALU_DEP_1) | instid1(SALU_CYCLE_1)
	v_cmp_gt_i64_e32 vcc_lo, s[2:3], v[1:2]
	s_and_saveexec_b32 s2, vcc_lo
	s_cbranch_execz .LBB154_13
; %bb.1:
	s_clause 0x6
	s_load_b32 s13, s[0:1], 0x28
	s_load_b32 s14, s[0:1], 0x48
	s_load_b256 s[4:11], s[0:1], 0x8
	s_load_b128 s[16:19], s[0:1], 0x30
	s_load_b64 s[2:3], s[0:1], 0x50
	s_load_b32 s12, s[0:1], 0x58
	s_load_b64 s[0:1], s[0:1], 0x40
	v_bfe_u32 v0, v0, 10, 10
	s_waitcnt lgkmcnt(0)
	v_mad_u64_u32 v[2:3], null, s13, v1, 0
	v_mad_u64_u32 v[5:6], null, s14, v1, 0
	s_ashr_i32 s13, s13, 31
	s_lshl_b64 s[10:11], s[10:11], 1
	s_delay_alu instid0(VALU_DEP_1) | instskip(NEXT) | instid1(VALU_DEP_1)
	v_mov_b32_e32 v4, v6
	v_mad_u64_u32 v[6:7], null, s13, v1, v[3:4]
	s_ashr_i32 s13, s14, 31
	s_add_u32 s8, s10, s8
	s_delay_alu instid0(VALU_DEP_3) | instskip(SKIP_2) | instid1(VALU_DEP_3)
	v_mad_u64_u32 v[7:8], null, s13, v1, v[4:5]
	v_lshlrev_b32_e32 v4, 2, v0
	s_addc_u32 s9, s11, s9
	v_mov_b32_e32 v3, v6
	s_lshl_b64 s[0:1], s[0:1], 1
	s_delay_alu instid0(SALU_CYCLE_1) | instskip(NEXT) | instid1(VALU_DEP_3)
	s_add_u32 s0, s0, s18
	v_mov_b32_e32 v6, v7
	s_delay_alu instid0(VALU_DEP_2) | instskip(SKIP_2) | instid1(VALU_DEP_3)
	v_lshlrev_b64 v[0:1], 1, v[2:3]
	s_addc_u32 s1, s1, s19
	v_lshl_add_u32 v4, s15, 5, v4
	v_lshlrev_b64 v[2:3], 1, v[5:6]
	s_delay_alu instid0(VALU_DEP_3) | instskip(NEXT) | instid1(VALU_DEP_4)
	v_add_co_u32 v0, vcc_lo, s8, v0
	v_add_co_ci_u32_e32 v1, vcc_lo, s9, v1, vcc_lo
	s_delay_alu instid0(VALU_DEP_3) | instskip(NEXT) | instid1(VALU_DEP_4)
	v_add_co_u32 v2, vcc_lo, s0, v2
	v_add_co_ci_u32_e32 v3, vcc_lo, s1, v3, vcc_lo
	s_mov_b32 s0, exec_lo
	v_cmpx_gt_u32_e64 s12, v4
	s_cbranch_execz .LBB154_4
; %bb.2:
	v_mad_u64_u32 v[5:6], null, v4, s6, 0
	s_delay_alu instid0(VALU_DEP_1) | instskip(NEXT) | instid1(VALU_DEP_1)
	v_mad_u64_u32 v[7:8], null, v4, s7, v[6:7]
	v_mov_b32_e32 v6, v7
	s_delay_alu instid0(VALU_DEP_1) | instskip(NEXT) | instid1(VALU_DEP_1)
	v_lshlrev_b64 v[5:6], 2, v[5:6]
	v_add_co_u32 v5, vcc_lo, s4, v5
	s_delay_alu instid0(VALU_DEP_2)
	v_add_co_ci_u32_e32 v6, vcc_lo, s5, v6, vcc_lo
	global_load_b32 v5, v[5:6], off
	s_waitcnt vmcnt(0)
	v_cmp_neq_f32_e32 vcc_lo, 0, v5
	s_and_b32 exec_lo, exec_lo, vcc_lo
	s_cbranch_execz .LBB154_4
; %bb.3:
	v_mad_u64_u32 v[6:7], null, v4, s2, 0
	v_mad_u64_u32 v[8:9], null, v4, s16, 0
	s_delay_alu instid0(VALU_DEP_1) | instskip(NEXT) | instid1(VALU_DEP_1)
	v_mad_u64_u32 v[10:11], null, v4, s3, v[7:8]
	v_mad_u64_u32 v[11:12], null, v4, s17, v[9:10]
	v_mov_b32_e32 v7, v10
	s_delay_alu instid0(VALU_DEP_1) | instskip(NEXT) | instid1(VALU_DEP_3)
	v_lshlrev_b64 v[6:7], 1, v[6:7]
	v_mov_b32_e32 v9, v11
	s_delay_alu instid0(VALU_DEP_2) | instskip(NEXT) | instid1(VALU_DEP_2)
	v_add_co_u32 v6, vcc_lo, v2, v6
	v_lshlrev_b64 v[8:9], 1, v[8:9]
	s_delay_alu instid0(VALU_DEP_4) | instskip(NEXT) | instid1(VALU_DEP_2)
	v_add_co_ci_u32_e32 v7, vcc_lo, v3, v7, vcc_lo
	v_add_co_u32 v8, vcc_lo, v0, v8
	s_delay_alu instid0(VALU_DEP_3)
	v_add_co_ci_u32_e32 v9, vcc_lo, v1, v9, vcc_lo
	global_load_u16 v10, v[6:7], off
	global_load_u16 v8, v[8:9], off
	s_waitcnt vmcnt(0)
	v_fma_mixlo_f16 v5, v5, v8, v10 op_sel_hi:[0,1,1]
	global_store_b16 v[6:7], v5, off
.LBB154_4:
	s_or_b32 exec_lo, exec_lo, s0
	v_or_b32_e32 v5, 1, v4
	s_mov_b32 s0, exec_lo
	s_delay_alu instid0(VALU_DEP_1)
	v_cmpx_gt_u32_e64 s12, v5
	s_cbranch_execz .LBB154_7
; %bb.5:
	v_mad_u64_u32 v[6:7], null, v5, s6, 0
	s_delay_alu instid0(VALU_DEP_1) | instskip(NEXT) | instid1(VALU_DEP_1)
	v_mad_u64_u32 v[8:9], null, v5, s7, v[7:8]
	v_mov_b32_e32 v7, v8
	s_delay_alu instid0(VALU_DEP_1) | instskip(NEXT) | instid1(VALU_DEP_1)
	v_lshlrev_b64 v[6:7], 2, v[6:7]
	v_add_co_u32 v6, vcc_lo, s4, v6
	s_delay_alu instid0(VALU_DEP_2)
	v_add_co_ci_u32_e32 v7, vcc_lo, s5, v7, vcc_lo
	global_load_b32 v6, v[6:7], off
	s_waitcnt vmcnt(0)
	v_cmp_neq_f32_e32 vcc_lo, 0, v6
	s_and_b32 exec_lo, exec_lo, vcc_lo
	s_cbranch_execz .LBB154_7
; %bb.6:
	v_mad_u64_u32 v[7:8], null, v5, s2, 0
	v_mad_u64_u32 v[9:10], null, v5, s16, 0
	s_delay_alu instid0(VALU_DEP_1) | instskip(NEXT) | instid1(VALU_DEP_1)
	v_mad_u64_u32 v[11:12], null, v5, s3, v[8:9]
	v_mad_u64_u32 v[12:13], null, v5, s17, v[10:11]
	v_mov_b32_e32 v8, v11
	s_delay_alu instid0(VALU_DEP_1) | instskip(NEXT) | instid1(VALU_DEP_3)
	v_lshlrev_b64 v[7:8], 1, v[7:8]
	v_mov_b32_e32 v10, v12
	s_delay_alu instid0(VALU_DEP_2) | instskip(NEXT) | instid1(VALU_DEP_2)
	v_add_co_u32 v7, vcc_lo, v2, v7
	v_lshlrev_b64 v[9:10], 1, v[9:10]
	s_delay_alu instid0(VALU_DEP_4) | instskip(NEXT) | instid1(VALU_DEP_2)
	v_add_co_ci_u32_e32 v8, vcc_lo, v3, v8, vcc_lo
	v_add_co_u32 v9, vcc_lo, v0, v9
	s_delay_alu instid0(VALU_DEP_3)
	v_add_co_ci_u32_e32 v10, vcc_lo, v1, v10, vcc_lo
	global_load_u16 v5, v[7:8], off
	global_load_u16 v9, v[9:10], off
	s_waitcnt vmcnt(0)
	v_fma_mixlo_f16 v5, v6, v9, v5 op_sel_hi:[0,1,1]
	global_store_b16 v[7:8], v5, off
.LBB154_7:
	s_or_b32 exec_lo, exec_lo, s0
	v_or_b32_e32 v5, 2, v4
	s_mov_b32 s0, exec_lo
	s_delay_alu instid0(VALU_DEP_1)
	v_cmpx_gt_u32_e64 s12, v5
	s_cbranch_execz .LBB154_10
; %bb.8:
	v_mad_u64_u32 v[6:7], null, v5, s6, 0
	s_delay_alu instid0(VALU_DEP_1) | instskip(NEXT) | instid1(VALU_DEP_1)
	v_mad_u64_u32 v[8:9], null, v5, s7, v[7:8]
	v_mov_b32_e32 v7, v8
	s_delay_alu instid0(VALU_DEP_1) | instskip(NEXT) | instid1(VALU_DEP_1)
	v_lshlrev_b64 v[6:7], 2, v[6:7]
	v_add_co_u32 v6, vcc_lo, s4, v6
	s_delay_alu instid0(VALU_DEP_2)
	v_add_co_ci_u32_e32 v7, vcc_lo, s5, v7, vcc_lo
	global_load_b32 v6, v[6:7], off
	s_waitcnt vmcnt(0)
	v_cmp_neq_f32_e32 vcc_lo, 0, v6
	s_and_b32 exec_lo, exec_lo, vcc_lo
	s_cbranch_execz .LBB154_10
; %bb.9:
	v_mad_u64_u32 v[7:8], null, v5, s2, 0
	v_mad_u64_u32 v[9:10], null, v5, s16, 0
	s_delay_alu instid0(VALU_DEP_1) | instskip(NEXT) | instid1(VALU_DEP_1)
	v_mad_u64_u32 v[11:12], null, v5, s3, v[8:9]
	v_mad_u64_u32 v[12:13], null, v5, s17, v[10:11]
	v_mov_b32_e32 v8, v11
	s_delay_alu instid0(VALU_DEP_1) | instskip(NEXT) | instid1(VALU_DEP_3)
	v_lshlrev_b64 v[7:8], 1, v[7:8]
	v_mov_b32_e32 v10, v12
	s_delay_alu instid0(VALU_DEP_2) | instskip(NEXT) | instid1(VALU_DEP_2)
	v_add_co_u32 v7, vcc_lo, v2, v7
	v_lshlrev_b64 v[9:10], 1, v[9:10]
	s_delay_alu instid0(VALU_DEP_4) | instskip(NEXT) | instid1(VALU_DEP_2)
	v_add_co_ci_u32_e32 v8, vcc_lo, v3, v8, vcc_lo
	v_add_co_u32 v9, vcc_lo, v0, v9
	s_delay_alu instid0(VALU_DEP_3)
	v_add_co_ci_u32_e32 v10, vcc_lo, v1, v10, vcc_lo
	global_load_u16 v5, v[7:8], off
	global_load_u16 v9, v[9:10], off
	s_waitcnt vmcnt(0)
	v_fma_mixlo_f16 v5, v6, v9, v5 op_sel_hi:[0,1,1]
	global_store_b16 v[7:8], v5, off
.LBB154_10:
	s_or_b32 exec_lo, exec_lo, s0
	v_or_b32_e32 v4, 3, v4
	s_delay_alu instid0(VALU_DEP_1)
	v_cmp_gt_u32_e32 vcc_lo, s12, v4
	s_and_b32 exec_lo, exec_lo, vcc_lo
	s_cbranch_execz .LBB154_13
; %bb.11:
	v_mad_u64_u32 v[5:6], null, v4, s6, 0
	s_delay_alu instid0(VALU_DEP_1) | instskip(NEXT) | instid1(VALU_DEP_1)
	v_mad_u64_u32 v[7:8], null, v4, s7, v[6:7]
	v_mov_b32_e32 v6, v7
	s_delay_alu instid0(VALU_DEP_1) | instskip(NEXT) | instid1(VALU_DEP_1)
	v_lshlrev_b64 v[5:6], 2, v[5:6]
	v_add_co_u32 v5, vcc_lo, s4, v5
	s_delay_alu instid0(VALU_DEP_2)
	v_add_co_ci_u32_e32 v6, vcc_lo, s5, v6, vcc_lo
	global_load_b32 v5, v[5:6], off
	s_waitcnt vmcnt(0)
	v_cmp_neq_f32_e32 vcc_lo, 0, v5
	s_and_b32 exec_lo, exec_lo, vcc_lo
	s_cbranch_execz .LBB154_13
; %bb.12:
	v_mad_u64_u32 v[6:7], null, v4, s2, 0
	v_mad_u64_u32 v[8:9], null, v4, s16, 0
	s_delay_alu instid0(VALU_DEP_1) | instskip(NEXT) | instid1(VALU_DEP_1)
	v_mad_u64_u32 v[10:11], null, v4, s3, v[7:8]
	v_mad_u64_u32 v[11:12], null, v4, s17, v[9:10]
	v_mov_b32_e32 v7, v10
	s_delay_alu instid0(VALU_DEP_1) | instskip(NEXT) | instid1(VALU_DEP_3)
	v_lshlrev_b64 v[6:7], 1, v[6:7]
	v_mov_b32_e32 v9, v11
	s_delay_alu instid0(VALU_DEP_2) | instskip(NEXT) | instid1(VALU_DEP_2)
	v_add_co_u32 v2, vcc_lo, v2, v6
	v_lshlrev_b64 v[8:9], 1, v[8:9]
	s_delay_alu instid0(VALU_DEP_4) | instskip(NEXT) | instid1(VALU_DEP_2)
	v_add_co_ci_u32_e32 v3, vcc_lo, v3, v7, vcc_lo
	v_add_co_u32 v0, vcc_lo, v0, v8
	s_delay_alu instid0(VALU_DEP_3)
	v_add_co_ci_u32_e32 v1, vcc_lo, v1, v9, vcc_lo
	global_load_u16 v4, v[2:3], off
	global_load_u16 v0, v[0:1], off
	s_waitcnt vmcnt(0)
	v_fma_mixlo_f16 v0, v5, v0, v4 op_sel_hi:[0,1,1]
	global_store_b16 v[2:3], v0, off
.LBB154_13:
	s_nop 0
	s_sendmsg sendmsg(MSG_DEALLOC_VGPRS)
	s_endpgm
	.section	.rodata,"a",@progbits
	.p2align	6, 0x0
	.amdhsa_kernel _ZL27rocblas_axpy_kernel_batchedIiLi128ELi8EfPKfPKDF16_PDF16_EviT3_lT4_lT_lT5_lS7_li
		.amdhsa_group_segment_fixed_size 0
		.amdhsa_private_segment_fixed_size 0
		.amdhsa_kernarg_size 92
		.amdhsa_user_sgpr_count 14
		.amdhsa_user_sgpr_dispatch_ptr 0
		.amdhsa_user_sgpr_queue_ptr 0
		.amdhsa_user_sgpr_kernarg_segment_ptr 1
		.amdhsa_user_sgpr_dispatch_id 0
		.amdhsa_user_sgpr_private_segment_size 0
		.amdhsa_wavefront_size32 1
		.amdhsa_uses_dynamic_stack 0
		.amdhsa_enable_private_segment 0
		.amdhsa_system_sgpr_workgroup_id_x 1
		.amdhsa_system_sgpr_workgroup_id_y 0
		.amdhsa_system_sgpr_workgroup_id_z 1
		.amdhsa_system_sgpr_workgroup_info 0
		.amdhsa_system_vgpr_workitem_id 1
		.amdhsa_next_free_vgpr 14
		.amdhsa_next_free_sgpr 20
		.amdhsa_reserve_vcc 1
		.amdhsa_float_round_mode_32 0
		.amdhsa_float_round_mode_16_64 0
		.amdhsa_float_denorm_mode_32 3
		.amdhsa_float_denorm_mode_16_64 3
		.amdhsa_dx10_clamp 1
		.amdhsa_ieee_mode 1
		.amdhsa_fp16_overflow 0
		.amdhsa_workgroup_processor_mode 1
		.amdhsa_memory_ordered 1
		.amdhsa_forward_progress 0
		.amdhsa_shared_vgpr_count 0
		.amdhsa_exception_fp_ieee_invalid_op 0
		.amdhsa_exception_fp_denorm_src 0
		.amdhsa_exception_fp_ieee_div_zero 0
		.amdhsa_exception_fp_ieee_overflow 0
		.amdhsa_exception_fp_ieee_underflow 0
		.amdhsa_exception_fp_ieee_inexact 0
		.amdhsa_exception_int_div_zero 0
	.end_amdhsa_kernel
	.section	.text._ZL27rocblas_axpy_kernel_batchedIiLi128ELi8EfPKfPKDF16_PDF16_EviT3_lT4_lT_lT5_lS7_li,"axG",@progbits,_ZL27rocblas_axpy_kernel_batchedIiLi128ELi8EfPKfPKDF16_PDF16_EviT3_lT4_lT_lT5_lS7_li,comdat
.Lfunc_end154:
	.size	_ZL27rocblas_axpy_kernel_batchedIiLi128ELi8EfPKfPKDF16_PDF16_EviT3_lT4_lT_lT5_lS7_li, .Lfunc_end154-_ZL27rocblas_axpy_kernel_batchedIiLi128ELi8EfPKfPKDF16_PDF16_EviT3_lT4_lT_lT5_lS7_li
                                        ; -- End function
	.section	.AMDGPU.csdata,"",@progbits
; Kernel info:
; codeLenInByte = 1236
; NumSgprs: 22
; NumVgprs: 14
; ScratchSize: 0
; MemoryBound: 0
; FloatMode: 240
; IeeeMode: 1
; LDSByteSize: 0 bytes/workgroup (compile time only)
; SGPRBlocks: 2
; VGPRBlocks: 1
; NumSGPRsForWavesPerEU: 22
; NumVGPRsForWavesPerEU: 14
; Occupancy: 16
; WaveLimiterHint : 0
; COMPUTE_PGM_RSRC2:SCRATCH_EN: 0
; COMPUTE_PGM_RSRC2:USER_SGPR: 14
; COMPUTE_PGM_RSRC2:TRAP_HANDLER: 0
; COMPUTE_PGM_RSRC2:TGID_X_EN: 1
; COMPUTE_PGM_RSRC2:TGID_Y_EN: 0
; COMPUTE_PGM_RSRC2:TGID_Z_EN: 1
; COMPUTE_PGM_RSRC2:TIDIG_COMP_CNT: 1
	.section	.text._ZL27rocblas_axpy_kernel_batchedIiLi128ELi8EffPKDF16_PDF16_EviT3_lT4_lT_lT5_lS5_li,"axG",@progbits,_ZL27rocblas_axpy_kernel_batchedIiLi128ELi8EffPKDF16_PDF16_EviT3_lT4_lT_lT5_lS5_li,comdat
	.globl	_ZL27rocblas_axpy_kernel_batchedIiLi128ELi8EffPKDF16_PDF16_EviT3_lT4_lT_lT5_lS5_li ; -- Begin function _ZL27rocblas_axpy_kernel_batchedIiLi128ELi8EffPKDF16_PDF16_EviT3_lT4_lT_lT5_lS5_li
	.p2align	8
	.type	_ZL27rocblas_axpy_kernel_batchedIiLi128ELi8EffPKDF16_PDF16_EviT3_lT4_lT_lT5_lS5_li,@function
_ZL27rocblas_axpy_kernel_batchedIiLi128ELi8EffPKDF16_PDF16_EviT3_lT4_lT_lT5_lS5_li: ; @_ZL27rocblas_axpy_kernel_batchedIiLi128ELi8EffPKDF16_PDF16_EviT3_lT4_lT_lT5_lS5_li
; %bb.0:
	s_load_b64 s[2:3], s[0:1], 0x0
	v_dual_mov_b32 v2, 0 :: v_dual_and_b32 v1, 0x3ff, v0
	s_delay_alu instid0(VALU_DEP_1)
	v_lshl_add_u32 v1, s14, 7, v1
	s_waitcnt lgkmcnt(0)
	s_ashr_i32 s5, s2, 31
	s_mov_b32 s4, s2
	s_mov_b32 s2, exec_lo
	v_cmpx_gt_i64_e64 s[4:5], v[1:2]
	s_cbranch_execz .LBB155_9
; %bb.1:
	s_clause 0x2
	s_load_b32 s12, s[0:1], 0x20
	s_load_b32 s13, s[0:1], 0x40
	s_load_b128 s[16:19], s[0:1], 0x10
	v_bfe_u32 v4, v0, 10, 10
	s_clause 0x3
	s_load_b64 s[8:9], s[0:1], 0x48
	s_load_b32 s2, s[0:1], 0x50
	s_load_b64 s[10:11], s[0:1], 0x38
	s_load_b128 s[4:7], s[0:1], 0x28
	v_cmp_neq_f32_e64 s1, s3, 0
	s_waitcnt lgkmcnt(0)
	v_mad_u64_u32 v[2:3], null, s12, v1, 0
	v_mad_u64_u32 v[5:6], null, s13, v1, 0
	s_ashr_i32 s0, s12, 31
	s_delay_alu instid0(VALU_DEP_1) | instskip(NEXT) | instid1(VALU_DEP_3)
	v_mov_b32_e32 v0, v6
	v_mad_u64_u32 v[6:7], null, s0, v1, v[3:4]
	v_lshlrev_b32_e32 v3, 2, v4
	s_ashr_i32 s0, s13, 31
	s_lshl_b64 s[12:13], s[18:19], 1
	v_mad_u64_u32 v[7:8], null, s0, v1, v[0:1]
	s_delay_alu instid0(VALU_DEP_2) | instskip(NEXT) | instid1(VALU_DEP_4)
	v_lshl_add_u32 v4, s15, 5, v3
	v_mov_b32_e32 v3, v6
	s_add_u32 s0, s12, s16
	s_addc_u32 s12, s13, s17
	s_lshl_b64 s[10:11], s[10:11], 1
	v_cmp_gt_u32_e32 vcc_lo, s2, v4
	s_delay_alu instid0(VALU_DEP_4) | instskip(SKIP_3) | instid1(VALU_DEP_2)
	v_mov_b32_e32 v6, v7
	v_lshlrev_b64 v[0:1], 1, v[2:3]
	s_add_u32 s6, s10, s6
	s_addc_u32 s7, s11, s7
	v_lshlrev_b64 v[2:3], 1, v[5:6]
	s_delay_alu instid0(VALU_DEP_2) | instskip(NEXT) | instid1(VALU_DEP_1)
	v_add_co_u32 v0, s0, s0, v0
	v_add_co_ci_u32_e64 v1, s0, s12, v1, s0
	s_delay_alu instid0(VALU_DEP_3) | instskip(NEXT) | instid1(VALU_DEP_1)
	v_add_co_u32 v2, s0, s6, v2
	v_add_co_ci_u32_e64 v3, s0, s7, v3, s0
	s_and_b32 s6, s1, vcc_lo
	s_delay_alu instid0(SALU_CYCLE_1)
	s_and_saveexec_b32 s0, s6
	s_cbranch_execz .LBB155_3
; %bb.2:
	v_mad_u64_u32 v[5:6], null, v4, s8, 0
	v_mad_u64_u32 v[7:8], null, v4, s4, 0
	s_delay_alu instid0(VALU_DEP_1) | instskip(NEXT) | instid1(VALU_DEP_1)
	v_mad_u64_u32 v[9:10], null, v4, s9, v[6:7]
	v_mad_u64_u32 v[10:11], null, v4, s5, v[8:9]
	v_mov_b32_e32 v6, v9
	s_delay_alu instid0(VALU_DEP_1) | instskip(NEXT) | instid1(VALU_DEP_3)
	v_lshlrev_b64 v[5:6], 1, v[5:6]
	v_mov_b32_e32 v8, v10
	s_delay_alu instid0(VALU_DEP_2) | instskip(NEXT) | instid1(VALU_DEP_2)
	v_add_co_u32 v5, vcc_lo, v2, v5
	v_lshlrev_b64 v[7:8], 1, v[7:8]
	s_delay_alu instid0(VALU_DEP_4) | instskip(NEXT) | instid1(VALU_DEP_2)
	v_add_co_ci_u32_e32 v6, vcc_lo, v3, v6, vcc_lo
	v_add_co_u32 v7, vcc_lo, v0, v7
	s_delay_alu instid0(VALU_DEP_3)
	v_add_co_ci_u32_e32 v8, vcc_lo, v1, v8, vcc_lo
	global_load_u16 v9, v[5:6], off
	global_load_u16 v7, v[7:8], off
	s_waitcnt vmcnt(0)
	v_fma_mixlo_f16 v7, v7, s3, v9 op_sel_hi:[1,0,1]
	global_store_b16 v[5:6], v7, off
.LBB155_3:
	s_or_b32 exec_lo, exec_lo, s0
	v_or_b32_e32 v5, 1, v4
	s_delay_alu instid0(VALU_DEP_1) | instskip(SKIP_1) | instid1(SALU_CYCLE_1)
	v_cmp_gt_u32_e32 vcc_lo, s2, v5
	s_and_b32 s6, s1, vcc_lo
	s_and_saveexec_b32 s0, s6
	s_cbranch_execz .LBB155_5
; %bb.4:
	v_mad_u64_u32 v[6:7], null, v5, s8, 0
	v_mad_u64_u32 v[8:9], null, v5, s4, 0
	s_delay_alu instid0(VALU_DEP_1) | instskip(NEXT) | instid1(VALU_DEP_1)
	v_mad_u64_u32 v[10:11], null, v5, s9, v[7:8]
	v_mad_u64_u32 v[11:12], null, v5, s5, v[9:10]
	v_mov_b32_e32 v7, v10
	s_delay_alu instid0(VALU_DEP_1) | instskip(NEXT) | instid1(VALU_DEP_3)
	v_lshlrev_b64 v[5:6], 1, v[6:7]
	v_mov_b32_e32 v9, v11
	s_delay_alu instid0(VALU_DEP_2) | instskip(NEXT) | instid1(VALU_DEP_2)
	v_add_co_u32 v5, vcc_lo, v2, v5
	v_lshlrev_b64 v[7:8], 1, v[8:9]
	s_delay_alu instid0(VALU_DEP_4) | instskip(NEXT) | instid1(VALU_DEP_2)
	v_add_co_ci_u32_e32 v6, vcc_lo, v3, v6, vcc_lo
	v_add_co_u32 v7, vcc_lo, v0, v7
	s_delay_alu instid0(VALU_DEP_3)
	v_add_co_ci_u32_e32 v8, vcc_lo, v1, v8, vcc_lo
	global_load_u16 v9, v[5:6], off
	global_load_u16 v7, v[7:8], off
	s_waitcnt vmcnt(0)
	v_fma_mixlo_f16 v7, v7, s3, v9 op_sel_hi:[1,0,1]
	global_store_b16 v[5:6], v7, off
.LBB155_5:
	s_or_b32 exec_lo, exec_lo, s0
	v_or_b32_e32 v5, 2, v4
	s_delay_alu instid0(VALU_DEP_1) | instskip(SKIP_1) | instid1(SALU_CYCLE_1)
	v_cmp_gt_u32_e32 vcc_lo, s2, v5
	s_and_b32 s6, s1, vcc_lo
	s_and_saveexec_b32 s0, s6
	s_cbranch_execz .LBB155_7
; %bb.6:
	v_mad_u64_u32 v[6:7], null, v5, s8, 0
	v_mad_u64_u32 v[8:9], null, v5, s4, 0
	s_delay_alu instid0(VALU_DEP_1) | instskip(NEXT) | instid1(VALU_DEP_1)
	v_mad_u64_u32 v[10:11], null, v5, s9, v[7:8]
	v_mad_u64_u32 v[11:12], null, v5, s5, v[9:10]
	v_mov_b32_e32 v7, v10
	s_delay_alu instid0(VALU_DEP_1) | instskip(NEXT) | instid1(VALU_DEP_3)
	v_lshlrev_b64 v[5:6], 1, v[6:7]
	v_mov_b32_e32 v9, v11
	s_delay_alu instid0(VALU_DEP_2) | instskip(NEXT) | instid1(VALU_DEP_2)
	v_add_co_u32 v5, vcc_lo, v2, v5
	v_lshlrev_b64 v[7:8], 1, v[8:9]
	s_delay_alu instid0(VALU_DEP_4) | instskip(NEXT) | instid1(VALU_DEP_2)
	v_add_co_ci_u32_e32 v6, vcc_lo, v3, v6, vcc_lo
	v_add_co_u32 v7, vcc_lo, v0, v7
	s_delay_alu instid0(VALU_DEP_3)
	v_add_co_ci_u32_e32 v8, vcc_lo, v1, v8, vcc_lo
	global_load_u16 v9, v[5:6], off
	global_load_u16 v7, v[7:8], off
	s_waitcnt vmcnt(0)
	v_fma_mixlo_f16 v7, v7, s3, v9 op_sel_hi:[1,0,1]
	global_store_b16 v[5:6], v7, off
.LBB155_7:
	s_or_b32 exec_lo, exec_lo, s0
	v_or_b32_e32 v4, 3, v4
	s_delay_alu instid0(VALU_DEP_1) | instskip(SKIP_1) | instid1(SALU_CYCLE_1)
	v_cmp_gt_u32_e32 vcc_lo, s2, v4
	s_and_b32 s0, s1, vcc_lo
	s_and_b32 exec_lo, exec_lo, s0
	s_cbranch_execz .LBB155_9
; %bb.8:
	v_mad_u64_u32 v[5:6], null, v4, s8, 0
	v_mad_u64_u32 v[7:8], null, v4, s4, 0
	s_delay_alu instid0(VALU_DEP_1) | instskip(NEXT) | instid1(VALU_DEP_1)
	v_mad_u64_u32 v[9:10], null, v4, s9, v[6:7]
	v_mad_u64_u32 v[10:11], null, v4, s5, v[8:9]
	v_mov_b32_e32 v6, v9
	s_delay_alu instid0(VALU_DEP_1) | instskip(NEXT) | instid1(VALU_DEP_3)
	v_lshlrev_b64 v[4:5], 1, v[5:6]
	v_mov_b32_e32 v8, v10
	s_delay_alu instid0(VALU_DEP_2) | instskip(NEXT) | instid1(VALU_DEP_2)
	v_add_co_u32 v2, vcc_lo, v2, v4
	v_lshlrev_b64 v[6:7], 1, v[7:8]
	s_delay_alu instid0(VALU_DEP_4) | instskip(NEXT) | instid1(VALU_DEP_2)
	v_add_co_ci_u32_e32 v3, vcc_lo, v3, v5, vcc_lo
	v_add_co_u32 v0, vcc_lo, v0, v6
	s_delay_alu instid0(VALU_DEP_3)
	v_add_co_ci_u32_e32 v1, vcc_lo, v1, v7, vcc_lo
	global_load_u16 v4, v[2:3], off
	global_load_u16 v0, v[0:1], off
	s_waitcnt vmcnt(0)
	v_fma_mixlo_f16 v0, v0, s3, v4 op_sel_hi:[1,0,1]
	global_store_b16 v[2:3], v0, off
.LBB155_9:
	s_nop 0
	s_sendmsg sendmsg(MSG_DEALLOC_VGPRS)
	s_endpgm
	.section	.rodata,"a",@progbits
	.p2align	6, 0x0
	.amdhsa_kernel _ZL27rocblas_axpy_kernel_batchedIiLi128ELi8EffPKDF16_PDF16_EviT3_lT4_lT_lT5_lS5_li
		.amdhsa_group_segment_fixed_size 0
		.amdhsa_private_segment_fixed_size 0
		.amdhsa_kernarg_size 84
		.amdhsa_user_sgpr_count 14
		.amdhsa_user_sgpr_dispatch_ptr 0
		.amdhsa_user_sgpr_queue_ptr 0
		.amdhsa_user_sgpr_kernarg_segment_ptr 1
		.amdhsa_user_sgpr_dispatch_id 0
		.amdhsa_user_sgpr_private_segment_size 0
		.amdhsa_wavefront_size32 1
		.amdhsa_uses_dynamic_stack 0
		.amdhsa_enable_private_segment 0
		.amdhsa_system_sgpr_workgroup_id_x 1
		.amdhsa_system_sgpr_workgroup_id_y 0
		.amdhsa_system_sgpr_workgroup_id_z 1
		.amdhsa_system_sgpr_workgroup_info 0
		.amdhsa_system_vgpr_workitem_id 1
		.amdhsa_next_free_vgpr 13
		.amdhsa_next_free_sgpr 20
		.amdhsa_reserve_vcc 1
		.amdhsa_float_round_mode_32 0
		.amdhsa_float_round_mode_16_64 0
		.amdhsa_float_denorm_mode_32 3
		.amdhsa_float_denorm_mode_16_64 3
		.amdhsa_dx10_clamp 1
		.amdhsa_ieee_mode 1
		.amdhsa_fp16_overflow 0
		.amdhsa_workgroup_processor_mode 1
		.amdhsa_memory_ordered 1
		.amdhsa_forward_progress 0
		.amdhsa_shared_vgpr_count 0
		.amdhsa_exception_fp_ieee_invalid_op 0
		.amdhsa_exception_fp_denorm_src 0
		.amdhsa_exception_fp_ieee_div_zero 0
		.amdhsa_exception_fp_ieee_overflow 0
		.amdhsa_exception_fp_ieee_underflow 0
		.amdhsa_exception_fp_ieee_inexact 0
		.amdhsa_exception_int_div_zero 0
	.end_amdhsa_kernel
	.section	.text._ZL27rocblas_axpy_kernel_batchedIiLi128ELi8EffPKDF16_PDF16_EviT3_lT4_lT_lT5_lS5_li,"axG",@progbits,_ZL27rocblas_axpy_kernel_batchedIiLi128ELi8EffPKDF16_PDF16_EviT3_lT4_lT_lT5_lS5_li,comdat
.Lfunc_end155:
	.size	_ZL27rocblas_axpy_kernel_batchedIiLi128ELi8EffPKDF16_PDF16_EviT3_lT4_lT_lT5_lS5_li, .Lfunc_end155-_ZL27rocblas_axpy_kernel_batchedIiLi128ELi8EffPKDF16_PDF16_EviT3_lT4_lT_lT5_lS5_li
                                        ; -- End function
	.section	.AMDGPU.csdata,"",@progbits
; Kernel info:
; codeLenInByte = 960
; NumSgprs: 22
; NumVgprs: 13
; ScratchSize: 0
; MemoryBound: 0
; FloatMode: 240
; IeeeMode: 1
; LDSByteSize: 0 bytes/workgroup (compile time only)
; SGPRBlocks: 2
; VGPRBlocks: 1
; NumSGPRsForWavesPerEU: 22
; NumVGPRsForWavesPerEU: 13
; Occupancy: 16
; WaveLimiterHint : 0
; COMPUTE_PGM_RSRC2:SCRATCH_EN: 0
; COMPUTE_PGM_RSRC2:USER_SGPR: 14
; COMPUTE_PGM_RSRC2:TRAP_HANDLER: 0
; COMPUTE_PGM_RSRC2:TGID_X_EN: 1
; COMPUTE_PGM_RSRC2:TGID_Y_EN: 0
; COMPUTE_PGM_RSRC2:TGID_Z_EN: 1
; COMPUTE_PGM_RSRC2:TIDIG_COMP_CNT: 1
	.section	.text._ZL19rocblas_axpy_kernelIiLi256EfPKfPKDF16_PDF16_EviT2_lT3_lT_lT4_lS7_li,"axG",@progbits,_ZL19rocblas_axpy_kernelIiLi256EfPKfPKDF16_PDF16_EviT2_lT3_lT_lT4_lS7_li,comdat
	.globl	_ZL19rocblas_axpy_kernelIiLi256EfPKfPKDF16_PDF16_EviT2_lT3_lT_lT4_lS7_li ; -- Begin function _ZL19rocblas_axpy_kernelIiLi256EfPKfPKDF16_PDF16_EviT2_lT3_lT_lT4_lS7_li
	.p2align	8
	.type	_ZL19rocblas_axpy_kernelIiLi256EfPKfPKDF16_PDF16_EviT2_lT3_lT_lT4_lS7_li,@function
_ZL19rocblas_axpy_kernelIiLi256EfPKfPKDF16_PDF16_EviT2_lT3_lT_lT4_lS7_li: ; @_ZL19rocblas_axpy_kernelIiLi256EfPKfPKDF16_PDF16_EviT2_lT3_lT_lT4_lS7_li
; %bb.0:
	s_clause 0x1
	s_load_b128 s[4:7], s[0:1], 0x8
	s_load_b32 s8, s[0:1], 0x0
	v_lshl_or_b32 v0, s14, 8, v0
	v_mov_b32_e32 v1, 0
	s_waitcnt lgkmcnt(0)
	s_mul_i32 s2, s15, s7
	s_mul_hi_u32 s3, s15, s6
	s_ashr_i32 s9, s8, 31
	s_add_i32 s3, s3, s2
	s_mul_i32 s2, s15, s6
	v_cmp_gt_i64_e32 vcc_lo, s[8:9], v[0:1]
	s_lshl_b64 s[2:3], s[2:3], 2
	s_delay_alu instid0(SALU_CYCLE_1) | instskip(SKIP_4) | instid1(VALU_DEP_1)
	s_add_u32 s2, s4, s2
	s_addc_u32 s3, s5, s3
	s_load_b32 s2, s[2:3], 0x0
	s_waitcnt lgkmcnt(0)
	v_cmp_neq_f32_e64 s3, s2, 0
	s_and_b32 s3, vcc_lo, s3
	s_delay_alu instid0(SALU_CYCLE_1)
	s_and_saveexec_b32 s4, s3
	s_cbranch_execz .LBB156_2
; %bb.1:
	s_clause 0x5
	s_load_b32 s3, s[0:1], 0x28
	s_load_b32 s14, s[0:1], 0x48
	s_load_b128 s[4:7], s[0:1], 0x30
	s_load_b64 s[12:13], s[0:1], 0x50
	s_load_b128 s[8:11], s[0:1], 0x18
	s_load_b64 s[0:1], s[0:1], 0x40
	s_waitcnt lgkmcnt(0)
	v_mad_u64_u32 v[1:2], null, s3, v0, 0
	v_mad_u64_u32 v[3:4], null, s14, v0, 0
	s_ashr_i32 s17, s14, 31
	s_ashr_i32 s16, s3, 31
	s_mul_i32 s3, s15, s5
	s_mul_hi_u32 s5, s15, s4
	s_mul_i32 s4, s15, s4
	s_add_i32 s5, s5, s3
	s_delay_alu instid0(VALU_DEP_1)
	v_mad_u64_u32 v[5:6], null, s17, v0, v[4:5]
	v_mad_u64_u32 v[6:7], null, s16, v0, v[2:3]
	s_lshl_b64 s[4:5], s[4:5], 1
	s_mul_i32 s13, s15, s13
	s_add_u32 s8, s8, s4
	s_addc_u32 s9, s9, s5
	s_lshl_b64 s[4:5], s[10:11], 1
	s_mul_hi_u32 s3, s15, s12
	v_mov_b32_e32 v4, v5
	s_add_u32 s8, s4, s8
	s_mul_i32 s12, s15, s12
	s_addc_u32 s9, s5, s9
	s_add_i32 s13, s3, s13
	v_mov_b32_e32 v2, v6
	s_lshl_b64 s[4:5], s[12:13], 1
	v_lshlrev_b64 v[3:4], 1, v[3:4]
	s_add_u32 s3, s6, s4
	s_addc_u32 s4, s7, s5
	s_lshl_b64 s[0:1], s[0:1], 1
	v_lshlrev_b64 v[0:1], 1, v[1:2]
	s_add_u32 s0, s0, s3
	s_addc_u32 s1, s1, s4
	v_add_co_u32 v2, vcc_lo, s0, v3
	v_add_co_ci_u32_e32 v3, vcc_lo, s1, v4, vcc_lo
	s_delay_alu instid0(VALU_DEP_3)
	v_add_co_u32 v0, vcc_lo, s8, v0
	v_add_co_ci_u32_e32 v1, vcc_lo, s9, v1, vcc_lo
	global_load_u16 v4, v[2:3], off
	global_load_u16 v0, v[0:1], off
	s_waitcnt vmcnt(0)
	v_fma_mixlo_f16 v0, s2, v0, v4 op_sel_hi:[0,1,1]
	global_store_b16 v[2:3], v0, off
.LBB156_2:
	s_nop 0
	s_sendmsg sendmsg(MSG_DEALLOC_VGPRS)
	s_endpgm
	.section	.rodata,"a",@progbits
	.p2align	6, 0x0
	.amdhsa_kernel _ZL19rocblas_axpy_kernelIiLi256EfPKfPKDF16_PDF16_EviT2_lT3_lT_lT4_lS7_li
		.amdhsa_group_segment_fixed_size 0
		.amdhsa_private_segment_fixed_size 0
		.amdhsa_kernarg_size 92
		.amdhsa_user_sgpr_count 14
		.amdhsa_user_sgpr_dispatch_ptr 0
		.amdhsa_user_sgpr_queue_ptr 0
		.amdhsa_user_sgpr_kernarg_segment_ptr 1
		.amdhsa_user_sgpr_dispatch_id 0
		.amdhsa_user_sgpr_private_segment_size 0
		.amdhsa_wavefront_size32 1
		.amdhsa_uses_dynamic_stack 0
		.amdhsa_enable_private_segment 0
		.amdhsa_system_sgpr_workgroup_id_x 1
		.amdhsa_system_sgpr_workgroup_id_y 0
		.amdhsa_system_sgpr_workgroup_id_z 1
		.amdhsa_system_sgpr_workgroup_info 0
		.amdhsa_system_vgpr_workitem_id 0
		.amdhsa_next_free_vgpr 8
		.amdhsa_next_free_sgpr 18
		.amdhsa_reserve_vcc 1
		.amdhsa_float_round_mode_32 0
		.amdhsa_float_round_mode_16_64 0
		.amdhsa_float_denorm_mode_32 3
		.amdhsa_float_denorm_mode_16_64 3
		.amdhsa_dx10_clamp 1
		.amdhsa_ieee_mode 1
		.amdhsa_fp16_overflow 0
		.amdhsa_workgroup_processor_mode 1
		.amdhsa_memory_ordered 1
		.amdhsa_forward_progress 0
		.amdhsa_shared_vgpr_count 0
		.amdhsa_exception_fp_ieee_invalid_op 0
		.amdhsa_exception_fp_denorm_src 0
		.amdhsa_exception_fp_ieee_div_zero 0
		.amdhsa_exception_fp_ieee_overflow 0
		.amdhsa_exception_fp_ieee_underflow 0
		.amdhsa_exception_fp_ieee_inexact 0
		.amdhsa_exception_int_div_zero 0
	.end_amdhsa_kernel
	.section	.text._ZL19rocblas_axpy_kernelIiLi256EfPKfPKDF16_PDF16_EviT2_lT3_lT_lT4_lS7_li,"axG",@progbits,_ZL19rocblas_axpy_kernelIiLi256EfPKfPKDF16_PDF16_EviT2_lT3_lT_lT4_lS7_li,comdat
.Lfunc_end156:
	.size	_ZL19rocblas_axpy_kernelIiLi256EfPKfPKDF16_PDF16_EviT2_lT3_lT_lT4_lS7_li, .Lfunc_end156-_ZL19rocblas_axpy_kernelIiLi256EfPKfPKDF16_PDF16_EviT2_lT3_lT_lT4_lS7_li
                                        ; -- End function
	.section	.AMDGPU.csdata,"",@progbits
; Kernel info:
; codeLenInByte = 392
; NumSgprs: 20
; NumVgprs: 8
; ScratchSize: 0
; MemoryBound: 0
; FloatMode: 240
; IeeeMode: 1
; LDSByteSize: 0 bytes/workgroup (compile time only)
; SGPRBlocks: 2
; VGPRBlocks: 0
; NumSGPRsForWavesPerEU: 20
; NumVGPRsForWavesPerEU: 8
; Occupancy: 16
; WaveLimiterHint : 0
; COMPUTE_PGM_RSRC2:SCRATCH_EN: 0
; COMPUTE_PGM_RSRC2:USER_SGPR: 14
; COMPUTE_PGM_RSRC2:TRAP_HANDLER: 0
; COMPUTE_PGM_RSRC2:TGID_X_EN: 1
; COMPUTE_PGM_RSRC2:TGID_Y_EN: 0
; COMPUTE_PGM_RSRC2:TGID_Z_EN: 1
; COMPUTE_PGM_RSRC2:TIDIG_COMP_CNT: 0
	.section	.text._ZL19rocblas_axpy_kernelIiLi256EffPKDF16_PDF16_EviT2_lT3_lT_lT4_lS5_li,"axG",@progbits,_ZL19rocblas_axpy_kernelIiLi256EffPKDF16_PDF16_EviT2_lT3_lT_lT4_lS5_li,comdat
	.globl	_ZL19rocblas_axpy_kernelIiLi256EffPKDF16_PDF16_EviT2_lT3_lT_lT4_lS5_li ; -- Begin function _ZL19rocblas_axpy_kernelIiLi256EffPKDF16_PDF16_EviT2_lT3_lT_lT4_lS5_li
	.p2align	8
	.type	_ZL19rocblas_axpy_kernelIiLi256EffPKDF16_PDF16_EviT2_lT3_lT_lT4_lS5_li,@function
_ZL19rocblas_axpy_kernelIiLi256EffPKDF16_PDF16_EviT2_lT3_lT_lT4_lS5_li: ; @_ZL19rocblas_axpy_kernelIiLi256EffPKDF16_PDF16_EviT2_lT3_lT_lT4_lS5_li
; %bb.0:
	s_load_b64 s[2:3], s[0:1], 0x0
	v_mov_b32_e32 v1, 0
	v_lshl_or_b32 v0, s14, 8, v0
	s_waitcnt lgkmcnt(0)
	s_ashr_i32 s5, s2, 31
	s_mov_b32 s4, s2
	v_cmp_neq_f32_e64 s2, s3, 0
	v_cmp_gt_i64_e32 vcc_lo, s[4:5], v[0:1]
	s_delay_alu instid0(VALU_DEP_2) | instskip(NEXT) | instid1(SALU_CYCLE_1)
	s_and_b32 s2, s2, vcc_lo
	s_and_saveexec_b32 s4, s2
	s_cbranch_execz .LBB157_2
; %bb.1:
	s_clause 0x5
	s_load_b32 s2, s[0:1], 0x20
	s_load_b32 s14, s[0:1], 0x40
	s_load_b128 s[4:7], s[0:1], 0x28
	s_load_b64 s[12:13], s[0:1], 0x48
	s_load_b128 s[8:11], s[0:1], 0x10
	s_load_b64 s[0:1], s[0:1], 0x38
	s_waitcnt lgkmcnt(0)
	v_mad_u64_u32 v[1:2], null, s2, v0, 0
	v_mad_u64_u32 v[3:4], null, s14, v0, 0
	s_ashr_i32 s17, s14, 31
	s_ashr_i32 s16, s2, 31
	s_mul_i32 s2, s15, s5
	s_mul_hi_u32 s5, s15, s4
	s_mul_i32 s4, s15, s4
	s_add_i32 s5, s5, s2
	s_delay_alu instid0(VALU_DEP_1)
	v_mad_u64_u32 v[5:6], null, s17, v0, v[4:5]
	v_mad_u64_u32 v[6:7], null, s16, v0, v[2:3]
	s_lshl_b64 s[4:5], s[4:5], 1
	s_mul_i32 s13, s15, s13
	s_add_u32 s8, s8, s4
	s_addc_u32 s9, s9, s5
	s_lshl_b64 s[4:5], s[10:11], 1
	s_mul_hi_u32 s2, s15, s12
	v_mov_b32_e32 v4, v5
	s_add_u32 s8, s4, s8
	s_mul_i32 s12, s15, s12
	s_addc_u32 s9, s5, s9
	s_add_i32 s13, s2, s13
	v_mov_b32_e32 v2, v6
	s_lshl_b64 s[4:5], s[12:13], 1
	v_lshlrev_b64 v[3:4], 1, v[3:4]
	s_add_u32 s2, s6, s4
	s_addc_u32 s4, s7, s5
	s_lshl_b64 s[0:1], s[0:1], 1
	v_lshlrev_b64 v[0:1], 1, v[1:2]
	s_add_u32 s0, s0, s2
	s_addc_u32 s1, s1, s4
	v_add_co_u32 v2, vcc_lo, s0, v3
	v_add_co_ci_u32_e32 v3, vcc_lo, s1, v4, vcc_lo
	s_delay_alu instid0(VALU_DEP_3)
	v_add_co_u32 v0, vcc_lo, s8, v0
	v_add_co_ci_u32_e32 v1, vcc_lo, s9, v1, vcc_lo
	global_load_u16 v4, v[2:3], off
	global_load_u16 v0, v[0:1], off
	s_waitcnt vmcnt(0)
	v_fma_mixlo_f16 v0, v0, s3, v4 op_sel_hi:[1,0,1]
	global_store_b16 v[2:3], v0, off
.LBB157_2:
	s_nop 0
	s_sendmsg sendmsg(MSG_DEALLOC_VGPRS)
	s_endpgm
	.section	.rodata,"a",@progbits
	.p2align	6, 0x0
	.amdhsa_kernel _ZL19rocblas_axpy_kernelIiLi256EffPKDF16_PDF16_EviT2_lT3_lT_lT4_lS5_li
		.amdhsa_group_segment_fixed_size 0
		.amdhsa_private_segment_fixed_size 0
		.amdhsa_kernarg_size 84
		.amdhsa_user_sgpr_count 14
		.amdhsa_user_sgpr_dispatch_ptr 0
		.amdhsa_user_sgpr_queue_ptr 0
		.amdhsa_user_sgpr_kernarg_segment_ptr 1
		.amdhsa_user_sgpr_dispatch_id 0
		.amdhsa_user_sgpr_private_segment_size 0
		.amdhsa_wavefront_size32 1
		.amdhsa_uses_dynamic_stack 0
		.amdhsa_enable_private_segment 0
		.amdhsa_system_sgpr_workgroup_id_x 1
		.amdhsa_system_sgpr_workgroup_id_y 0
		.amdhsa_system_sgpr_workgroup_id_z 1
		.amdhsa_system_sgpr_workgroup_info 0
		.amdhsa_system_vgpr_workitem_id 0
		.amdhsa_next_free_vgpr 8
		.amdhsa_next_free_sgpr 18
		.amdhsa_reserve_vcc 1
		.amdhsa_float_round_mode_32 0
		.amdhsa_float_round_mode_16_64 0
		.amdhsa_float_denorm_mode_32 3
		.amdhsa_float_denorm_mode_16_64 3
		.amdhsa_dx10_clamp 1
		.amdhsa_ieee_mode 1
		.amdhsa_fp16_overflow 0
		.amdhsa_workgroup_processor_mode 1
		.amdhsa_memory_ordered 1
		.amdhsa_forward_progress 0
		.amdhsa_shared_vgpr_count 0
		.amdhsa_exception_fp_ieee_invalid_op 0
		.amdhsa_exception_fp_denorm_src 0
		.amdhsa_exception_fp_ieee_div_zero 0
		.amdhsa_exception_fp_ieee_overflow 0
		.amdhsa_exception_fp_ieee_underflow 0
		.amdhsa_exception_fp_ieee_inexact 0
		.amdhsa_exception_int_div_zero 0
	.end_amdhsa_kernel
	.section	.text._ZL19rocblas_axpy_kernelIiLi256EffPKDF16_PDF16_EviT2_lT3_lT_lT4_lS5_li,"axG",@progbits,_ZL19rocblas_axpy_kernelIiLi256EffPKDF16_PDF16_EviT2_lT3_lT_lT4_lS5_li,comdat
.Lfunc_end157:
	.size	_ZL19rocblas_axpy_kernelIiLi256EffPKDF16_PDF16_EviT2_lT3_lT_lT4_lS5_li, .Lfunc_end157-_ZL19rocblas_axpy_kernelIiLi256EffPKDF16_PDF16_EviT2_lT3_lT_lT4_lS5_li
                                        ; -- End function
	.section	.AMDGPU.csdata,"",@progbits
; Kernel info:
; codeLenInByte = 340
; NumSgprs: 20
; NumVgprs: 8
; ScratchSize: 0
; MemoryBound: 0
; FloatMode: 240
; IeeeMode: 1
; LDSByteSize: 0 bytes/workgroup (compile time only)
; SGPRBlocks: 2
; VGPRBlocks: 0
; NumSGPRsForWavesPerEU: 20
; NumVGPRsForWavesPerEU: 8
; Occupancy: 16
; WaveLimiterHint : 0
; COMPUTE_PGM_RSRC2:SCRATCH_EN: 0
; COMPUTE_PGM_RSRC2:USER_SGPR: 14
; COMPUTE_PGM_RSRC2:TRAP_HANDLER: 0
; COMPUTE_PGM_RSRC2:TGID_X_EN: 1
; COMPUTE_PGM_RSRC2:TGID_Y_EN: 0
; COMPUTE_PGM_RSRC2:TGID_Z_EN: 1
; COMPUTE_PGM_RSRC2:TIDIG_COMP_CNT: 0
	.section	.text._ZL19rocblas_axpy_kernelIlLi256EfPKfPKDF16_PDF16_EviT2_lT3_lT_lT4_lS7_li,"axG",@progbits,_ZL19rocblas_axpy_kernelIlLi256EfPKfPKDF16_PDF16_EviT2_lT3_lT_lT4_lS7_li,comdat
	.globl	_ZL19rocblas_axpy_kernelIlLi256EfPKfPKDF16_PDF16_EviT2_lT3_lT_lT4_lS7_li ; -- Begin function _ZL19rocblas_axpy_kernelIlLi256EfPKfPKDF16_PDF16_EviT2_lT3_lT_lT4_lS7_li
	.p2align	8
	.type	_ZL19rocblas_axpy_kernelIlLi256EfPKfPKDF16_PDF16_EviT2_lT3_lT_lT4_lS7_li,@function
_ZL19rocblas_axpy_kernelIlLi256EfPKfPKDF16_PDF16_EviT2_lT3_lT_lT4_lS7_li: ; @_ZL19rocblas_axpy_kernelIlLi256EfPKfPKDF16_PDF16_EviT2_lT3_lT_lT4_lS7_li
; %bb.0:
	s_clause 0x1
	s_load_b128 s[4:7], s[0:1], 0x8
	s_load_b32 s8, s[0:1], 0x0
	v_lshl_or_b32 v0, s14, 8, v0
	v_mov_b32_e32 v1, 0
	s_waitcnt lgkmcnt(0)
	s_mul_i32 s2, s15, s7
	s_mul_hi_u32 s3, s15, s6
	s_ashr_i32 s9, s8, 31
	s_add_i32 s3, s3, s2
	s_mul_i32 s2, s15, s6
	v_cmp_gt_i64_e32 vcc_lo, s[8:9], v[0:1]
	s_lshl_b64 s[2:3], s[2:3], 2
	s_delay_alu instid0(SALU_CYCLE_1) | instskip(SKIP_4) | instid1(VALU_DEP_1)
	s_add_u32 s2, s4, s2
	s_addc_u32 s3, s5, s3
	s_load_b32 s2, s[2:3], 0x0
	s_waitcnt lgkmcnt(0)
	v_cmp_neq_f32_e64 s3, s2, 0
	s_and_b32 s3, vcc_lo, s3
	s_delay_alu instid0(SALU_CYCLE_1)
	s_and_saveexec_b32 s4, s3
	s_cbranch_execz .LBB158_2
; %bb.1:
	s_clause 0x3
	s_load_b128 s[16:19], s[0:1], 0x20
	s_load_b256 s[4:11], s[0:1], 0x30
	s_load_b64 s[12:13], s[0:1], 0x50
	s_load_b64 s[0:1], s[0:1], 0x18
	s_waitcnt lgkmcnt(0)
	v_mad_u64_u32 v[1:2], null, v0, s18, 0
	v_mad_u64_u32 v[3:4], null, v0, s10, 0
	s_mul_i32 s3, s15, s5
	s_mul_hi_u32 s5, s15, s4
	s_mul_i32 s4, s15, s4
	s_add_i32 s5, s5, s3
	s_mul_i32 s13, s15, s13
	s_lshl_b64 s[4:5], s[4:5], 1
	s_delay_alu instid0(VALU_DEP_1)
	v_mad_u64_u32 v[5:6], null, v0, s11, v[4:5]
	v_mad_u64_u32 v[6:7], null, v0, s19, v[2:3]
	s_add_u32 s4, s0, s4
	s_addc_u32 s5, s1, s5
	s_lshl_b64 s[0:1], s[16:17], 1
	s_mul_hi_u32 s3, s15, s12
	s_delay_alu instid0(VALU_DEP_2)
	v_mov_b32_e32 v4, v5
	s_add_u32 s4, s0, s4
	s_mul_i32 s10, s15, s12
	s_addc_u32 s5, s1, s5
	s_add_i32 s11, s3, s13
	v_mov_b32_e32 v2, v6
	s_lshl_b64 s[0:1], s[10:11], 1
	v_lshlrev_b64 v[3:4], 1, v[3:4]
	s_add_u32 s3, s6, s0
	s_addc_u32 s6, s7, s1
	s_lshl_b64 s[0:1], s[8:9], 1
	v_lshlrev_b64 v[0:1], 1, v[1:2]
	s_add_u32 s0, s0, s3
	s_addc_u32 s1, s1, s6
	v_add_co_u32 v2, vcc_lo, s0, v3
	v_add_co_ci_u32_e32 v3, vcc_lo, s1, v4, vcc_lo
	s_delay_alu instid0(VALU_DEP_3)
	v_add_co_u32 v0, vcc_lo, s4, v0
	v_add_co_ci_u32_e32 v1, vcc_lo, s5, v1, vcc_lo
	global_load_u16 v4, v[2:3], off
	global_load_u16 v0, v[0:1], off
	s_waitcnt vmcnt(0)
	v_fma_mixlo_f16 v0, s2, v0, v4 op_sel_hi:[0,1,1]
	global_store_b16 v[2:3], v0, off
.LBB158_2:
	s_nop 0
	s_sendmsg sendmsg(MSG_DEALLOC_VGPRS)
	s_endpgm
	.section	.rodata,"a",@progbits
	.p2align	6, 0x0
	.amdhsa_kernel _ZL19rocblas_axpy_kernelIlLi256EfPKfPKDF16_PDF16_EviT2_lT3_lT_lT4_lS7_li
		.amdhsa_group_segment_fixed_size 0
		.amdhsa_private_segment_fixed_size 0
		.amdhsa_kernarg_size 92
		.amdhsa_user_sgpr_count 14
		.amdhsa_user_sgpr_dispatch_ptr 0
		.amdhsa_user_sgpr_queue_ptr 0
		.amdhsa_user_sgpr_kernarg_segment_ptr 1
		.amdhsa_user_sgpr_dispatch_id 0
		.amdhsa_user_sgpr_private_segment_size 0
		.amdhsa_wavefront_size32 1
		.amdhsa_uses_dynamic_stack 0
		.amdhsa_enable_private_segment 0
		.amdhsa_system_sgpr_workgroup_id_x 1
		.amdhsa_system_sgpr_workgroup_id_y 0
		.amdhsa_system_sgpr_workgroup_id_z 1
		.amdhsa_system_sgpr_workgroup_info 0
		.amdhsa_system_vgpr_workitem_id 0
		.amdhsa_next_free_vgpr 8
		.amdhsa_next_free_sgpr 20
		.amdhsa_reserve_vcc 1
		.amdhsa_float_round_mode_32 0
		.amdhsa_float_round_mode_16_64 0
		.amdhsa_float_denorm_mode_32 3
		.amdhsa_float_denorm_mode_16_64 3
		.amdhsa_dx10_clamp 1
		.amdhsa_ieee_mode 1
		.amdhsa_fp16_overflow 0
		.amdhsa_workgroup_processor_mode 1
		.amdhsa_memory_ordered 1
		.amdhsa_forward_progress 0
		.amdhsa_shared_vgpr_count 0
		.amdhsa_exception_fp_ieee_invalid_op 0
		.amdhsa_exception_fp_denorm_src 0
		.amdhsa_exception_fp_ieee_div_zero 0
		.amdhsa_exception_fp_ieee_overflow 0
		.amdhsa_exception_fp_ieee_underflow 0
		.amdhsa_exception_fp_ieee_inexact 0
		.amdhsa_exception_int_div_zero 0
	.end_amdhsa_kernel
	.section	.text._ZL19rocblas_axpy_kernelIlLi256EfPKfPKDF16_PDF16_EviT2_lT3_lT_lT4_lS7_li,"axG",@progbits,_ZL19rocblas_axpy_kernelIlLi256EfPKfPKDF16_PDF16_EviT2_lT3_lT_lT4_lS7_li,comdat
.Lfunc_end158:
	.size	_ZL19rocblas_axpy_kernelIlLi256EfPKfPKDF16_PDF16_EviT2_lT3_lT_lT4_lS7_li, .Lfunc_end158-_ZL19rocblas_axpy_kernelIlLi256EfPKfPKDF16_PDF16_EviT2_lT3_lT_lT4_lS7_li
                                        ; -- End function
	.section	.AMDGPU.csdata,"",@progbits
; Kernel info:
; codeLenInByte = 372
; NumSgprs: 22
; NumVgprs: 8
; ScratchSize: 0
; MemoryBound: 0
; FloatMode: 240
; IeeeMode: 1
; LDSByteSize: 0 bytes/workgroup (compile time only)
; SGPRBlocks: 2
; VGPRBlocks: 0
; NumSGPRsForWavesPerEU: 22
; NumVGPRsForWavesPerEU: 8
; Occupancy: 16
; WaveLimiterHint : 0
; COMPUTE_PGM_RSRC2:SCRATCH_EN: 0
; COMPUTE_PGM_RSRC2:USER_SGPR: 14
; COMPUTE_PGM_RSRC2:TRAP_HANDLER: 0
; COMPUTE_PGM_RSRC2:TGID_X_EN: 1
; COMPUTE_PGM_RSRC2:TGID_Y_EN: 0
; COMPUTE_PGM_RSRC2:TGID_Z_EN: 1
; COMPUTE_PGM_RSRC2:TIDIG_COMP_CNT: 0
	.section	.text._ZL19rocblas_axpy_kernelIlLi256EffPKDF16_PDF16_EviT2_lT3_lT_lT4_lS5_li,"axG",@progbits,_ZL19rocblas_axpy_kernelIlLi256EffPKDF16_PDF16_EviT2_lT3_lT_lT4_lS5_li,comdat
	.globl	_ZL19rocblas_axpy_kernelIlLi256EffPKDF16_PDF16_EviT2_lT3_lT_lT4_lS5_li ; -- Begin function _ZL19rocblas_axpy_kernelIlLi256EffPKDF16_PDF16_EviT2_lT3_lT_lT4_lS5_li
	.p2align	8
	.type	_ZL19rocblas_axpy_kernelIlLi256EffPKDF16_PDF16_EviT2_lT3_lT_lT4_lS5_li,@function
_ZL19rocblas_axpy_kernelIlLi256EffPKDF16_PDF16_EviT2_lT3_lT_lT4_lS5_li: ; @_ZL19rocblas_axpy_kernelIlLi256EffPKDF16_PDF16_EviT2_lT3_lT_lT4_lS5_li
; %bb.0:
	s_load_b64 s[2:3], s[0:1], 0x0
	v_mov_b32_e32 v1, 0
	v_lshl_or_b32 v0, s14, 8, v0
	s_waitcnt lgkmcnt(0)
	s_ashr_i32 s5, s2, 31
	s_mov_b32 s4, s2
	v_cmp_neq_f32_e64 s2, s3, 0
	v_cmp_gt_i64_e32 vcc_lo, s[4:5], v[0:1]
	s_delay_alu instid0(VALU_DEP_2) | instskip(NEXT) | instid1(SALU_CYCLE_1)
	s_and_b32 s2, s2, vcc_lo
	s_and_saveexec_b32 s4, s2
	s_cbranch_execz .LBB159_2
; %bb.1:
	s_clause 0x3
	s_load_b128 s[16:19], s[0:1], 0x18
	s_load_b256 s[4:11], s[0:1], 0x28
	s_load_b64 s[12:13], s[0:1], 0x48
	s_load_b64 s[0:1], s[0:1], 0x10
	s_waitcnt lgkmcnt(0)
	v_mad_u64_u32 v[1:2], null, v0, s18, 0
	v_mad_u64_u32 v[3:4], null, v0, s10, 0
	s_mul_i32 s2, s15, s5
	s_mul_hi_u32 s5, s15, s4
	s_mul_i32 s4, s15, s4
	s_add_i32 s5, s5, s2
	s_mul_i32 s13, s15, s13
	s_lshl_b64 s[4:5], s[4:5], 1
	s_delay_alu instid0(VALU_DEP_1)
	v_mad_u64_u32 v[5:6], null, v0, s11, v[4:5]
	v_mad_u64_u32 v[6:7], null, v0, s19, v[2:3]
	s_add_u32 s4, s0, s4
	s_addc_u32 s5, s1, s5
	s_lshl_b64 s[0:1], s[16:17], 1
	s_mul_hi_u32 s2, s15, s12
	s_delay_alu instid0(VALU_DEP_2)
	v_mov_b32_e32 v4, v5
	s_add_u32 s4, s0, s4
	s_mul_i32 s10, s15, s12
	s_addc_u32 s5, s1, s5
	s_add_i32 s11, s2, s13
	v_mov_b32_e32 v2, v6
	s_lshl_b64 s[0:1], s[10:11], 1
	v_lshlrev_b64 v[3:4], 1, v[3:4]
	s_add_u32 s2, s6, s0
	s_addc_u32 s6, s7, s1
	s_lshl_b64 s[0:1], s[8:9], 1
	v_lshlrev_b64 v[0:1], 1, v[1:2]
	s_add_u32 s0, s0, s2
	s_addc_u32 s1, s1, s6
	v_add_co_u32 v2, vcc_lo, s0, v3
	v_add_co_ci_u32_e32 v3, vcc_lo, s1, v4, vcc_lo
	s_delay_alu instid0(VALU_DEP_3)
	v_add_co_u32 v0, vcc_lo, s4, v0
	v_add_co_ci_u32_e32 v1, vcc_lo, s5, v1, vcc_lo
	global_load_u16 v4, v[2:3], off
	global_load_u16 v0, v[0:1], off
	s_waitcnt vmcnt(0)
	v_fma_mixlo_f16 v0, v0, s3, v4 op_sel_hi:[1,0,1]
	global_store_b16 v[2:3], v0, off
.LBB159_2:
	s_nop 0
	s_sendmsg sendmsg(MSG_DEALLOC_VGPRS)
	s_endpgm
	.section	.rodata,"a",@progbits
	.p2align	6, 0x0
	.amdhsa_kernel _ZL19rocblas_axpy_kernelIlLi256EffPKDF16_PDF16_EviT2_lT3_lT_lT4_lS5_li
		.amdhsa_group_segment_fixed_size 0
		.amdhsa_private_segment_fixed_size 0
		.amdhsa_kernarg_size 84
		.amdhsa_user_sgpr_count 14
		.amdhsa_user_sgpr_dispatch_ptr 0
		.amdhsa_user_sgpr_queue_ptr 0
		.amdhsa_user_sgpr_kernarg_segment_ptr 1
		.amdhsa_user_sgpr_dispatch_id 0
		.amdhsa_user_sgpr_private_segment_size 0
		.amdhsa_wavefront_size32 1
		.amdhsa_uses_dynamic_stack 0
		.amdhsa_enable_private_segment 0
		.amdhsa_system_sgpr_workgroup_id_x 1
		.amdhsa_system_sgpr_workgroup_id_y 0
		.amdhsa_system_sgpr_workgroup_id_z 1
		.amdhsa_system_sgpr_workgroup_info 0
		.amdhsa_system_vgpr_workitem_id 0
		.amdhsa_next_free_vgpr 8
		.amdhsa_next_free_sgpr 20
		.amdhsa_reserve_vcc 1
		.amdhsa_float_round_mode_32 0
		.amdhsa_float_round_mode_16_64 0
		.amdhsa_float_denorm_mode_32 3
		.amdhsa_float_denorm_mode_16_64 3
		.amdhsa_dx10_clamp 1
		.amdhsa_ieee_mode 1
		.amdhsa_fp16_overflow 0
		.amdhsa_workgroup_processor_mode 1
		.amdhsa_memory_ordered 1
		.amdhsa_forward_progress 0
		.amdhsa_shared_vgpr_count 0
		.amdhsa_exception_fp_ieee_invalid_op 0
		.amdhsa_exception_fp_denorm_src 0
		.amdhsa_exception_fp_ieee_div_zero 0
		.amdhsa_exception_fp_ieee_overflow 0
		.amdhsa_exception_fp_ieee_underflow 0
		.amdhsa_exception_fp_ieee_inexact 0
		.amdhsa_exception_int_div_zero 0
	.end_amdhsa_kernel
	.section	.text._ZL19rocblas_axpy_kernelIlLi256EffPKDF16_PDF16_EviT2_lT3_lT_lT4_lS5_li,"axG",@progbits,_ZL19rocblas_axpy_kernelIlLi256EffPKDF16_PDF16_EviT2_lT3_lT_lT4_lS5_li,comdat
.Lfunc_end159:
	.size	_ZL19rocblas_axpy_kernelIlLi256EffPKDF16_PDF16_EviT2_lT3_lT_lT4_lS5_li, .Lfunc_end159-_ZL19rocblas_axpy_kernelIlLi256EffPKDF16_PDF16_EviT2_lT3_lT_lT4_lS5_li
                                        ; -- End function
	.section	.AMDGPU.csdata,"",@progbits
; Kernel info:
; codeLenInByte = 320
; NumSgprs: 22
; NumVgprs: 8
; ScratchSize: 0
; MemoryBound: 0
; FloatMode: 240
; IeeeMode: 1
; LDSByteSize: 0 bytes/workgroup (compile time only)
; SGPRBlocks: 2
; VGPRBlocks: 0
; NumSGPRsForWavesPerEU: 22
; NumVGPRsForWavesPerEU: 8
; Occupancy: 16
; WaveLimiterHint : 0
; COMPUTE_PGM_RSRC2:SCRATCH_EN: 0
; COMPUTE_PGM_RSRC2:USER_SGPR: 14
; COMPUTE_PGM_RSRC2:TRAP_HANDLER: 0
; COMPUTE_PGM_RSRC2:TGID_X_EN: 1
; COMPUTE_PGM_RSRC2:TGID_Y_EN: 0
; COMPUTE_PGM_RSRC2:TGID_Z_EN: 1
; COMPUTE_PGM_RSRC2:TIDIG_COMP_CNT: 0
	.section	.text._ZL26rocblas_haxpy_mlt_8_kernelILi256EPKDF16_PKPK16rocblas_bfloat16PKPS2_EviT0_lT1_llT2_lli,"axG",@progbits,_ZL26rocblas_haxpy_mlt_8_kernelILi256EPKDF16_PKPK16rocblas_bfloat16PKPS2_EviT0_lT1_llT2_lli,comdat
	.globl	_ZL26rocblas_haxpy_mlt_8_kernelILi256EPKDF16_PKPK16rocblas_bfloat16PKPS2_EviT0_lT1_llT2_lli ; -- Begin function _ZL26rocblas_haxpy_mlt_8_kernelILi256EPKDF16_PKPK16rocblas_bfloat16PKPS2_EviT0_lT1_llT2_lli
	.p2align	8
	.type	_ZL26rocblas_haxpy_mlt_8_kernelILi256EPKDF16_PKPK16rocblas_bfloat16PKPS2_EviT0_lT1_llT2_lli,@function
_ZL26rocblas_haxpy_mlt_8_kernelILi256EPKDF16_PKPK16rocblas_bfloat16PKPS2_EviT0_lT1_llT2_lli: ; @_ZL26rocblas_haxpy_mlt_8_kernelILi256EPKDF16_PKPK16rocblas_bfloat16PKPS2_EviT0_lT1_llT2_lli
; %bb.0:
	s_load_b256 s[4:11], s[0:1], 0x8
	v_mov_b32_e32 v1, 0
	s_waitcnt lgkmcnt(0)
	s_mul_i32 s3, s15, s7
	s_mul_hi_u32 s7, s15, s6
	s_mul_i32 s6, s15, s6
	s_add_i32 s7, s7, s3
	s_mov_b32 s3, 0
	s_lshl_b64 s[6:7], s[6:7], 1
	s_delay_alu instid0(SALU_CYCLE_1) | instskip(SKIP_4) | instid1(VALU_DEP_1)
	s_add_u32 s4, s4, s6
	s_addc_u32 s5, s5, s7
	global_load_u16 v2, v1, s[4:5]
	s_waitcnt vmcnt(0)
	v_and_b32_e32 v3, 0xffff, v2
	v_lshl_or_b32 v3, v2, 16, v3
	s_delay_alu instid0(VALU_DEP_1) | instskip(NEXT) | instid1(VALU_DEP_1)
	v_and_b32_e32 v3, 0x7fff, v3
	v_cmp_eq_u32_e32 vcc_lo, 0, v3
	s_cbranch_vccnz .LBB160_3
; %bb.1:
	s_load_b32 s4, s[0:1], 0x0
	v_lshl_or_b32 v0, s14, 8, v0
	s_delay_alu instid0(VALU_DEP_1)
	v_lshlrev_b64 v[0:1], 3, v[0:1]
	s_waitcnt lgkmcnt(0)
	s_ashr_i32 s5, s4, 31
	s_delay_alu instid0(VALU_DEP_1) | instid1(SALU_CYCLE_1)
	v_cmp_gt_i64_e32 vcc_lo, s[4:5], v[0:1]
	s_and_saveexec_b32 s4, vcc_lo
	s_cbranch_execz .LBB160_3
; %bb.2:
	s_mov_b32 s2, s15
	v_lshlrev_b64 v[0:1], 1, v[0:1]
	s_lshl_b64 s[4:5], s[2:3], 3
	s_delay_alu instid0(SALU_CYCLE_1)
	s_add_u32 s2, s8, s4
	s_addc_u32 s3, s9, s5
	s_lshl_b64 s[8:9], s[10:11], 1
	s_load_b64 s[6:7], s[2:3], 0x0
	s_load_b128 s[0:3], s[0:1], 0x30
	s_waitcnt lgkmcnt(0)
	s_add_u32 s6, s8, s6
	s_addc_u32 s7, s9, s7
	s_add_u32 s0, s0, s4
	s_addc_u32 s1, s1, s5
	s_lshl_b64 s[2:3], s[2:3], 1
	s_load_b64 s[0:1], s[0:1], 0x0
	v_add_co_u32 v3, vcc_lo, s6, v0
	v_add_co_ci_u32_e32 v4, vcc_lo, s7, v1, vcc_lo
	s_waitcnt lgkmcnt(0)
	s_add_u32 s0, s2, s0
	s_addc_u32 s1, s3, s1
	v_add_co_u32 v0, vcc_lo, s0, v0
	v_add_co_ci_u32_e32 v1, vcc_lo, s1, v1, vcc_lo
	global_load_b128 v[3:6], v[3:4], off
	global_load_b128 v[7:10], v[0:1], off
	s_waitcnt vmcnt(0)
	v_pk_fma_f16 v6, v2, v6, v10 op_sel_hi:[0,1,1]
	v_pk_fma_f16 v5, v2, v5, v9 op_sel_hi:[0,1,1]
	;; [unrolled: 1-line block ×4, first 2 shown]
	global_store_b128 v[0:1], v[3:6], off
.LBB160_3:
	s_nop 0
	s_sendmsg sendmsg(MSG_DEALLOC_VGPRS)
	s_endpgm
	.section	.rodata,"a",@progbits
	.p2align	6, 0x0
	.amdhsa_kernel _ZL26rocblas_haxpy_mlt_8_kernelILi256EPKDF16_PKPK16rocblas_bfloat16PKPS2_EviT0_lT1_llT2_lli
		.amdhsa_group_segment_fixed_size 0
		.amdhsa_private_segment_fixed_size 0
		.amdhsa_kernarg_size 76
		.amdhsa_user_sgpr_count 14
		.amdhsa_user_sgpr_dispatch_ptr 0
		.amdhsa_user_sgpr_queue_ptr 0
		.amdhsa_user_sgpr_kernarg_segment_ptr 1
		.amdhsa_user_sgpr_dispatch_id 0
		.amdhsa_user_sgpr_private_segment_size 0
		.amdhsa_wavefront_size32 1
		.amdhsa_uses_dynamic_stack 0
		.amdhsa_enable_private_segment 0
		.amdhsa_system_sgpr_workgroup_id_x 1
		.amdhsa_system_sgpr_workgroup_id_y 0
		.amdhsa_system_sgpr_workgroup_id_z 1
		.amdhsa_system_sgpr_workgroup_info 0
		.amdhsa_system_vgpr_workitem_id 0
		.amdhsa_next_free_vgpr 11
		.amdhsa_next_free_sgpr 16
		.amdhsa_reserve_vcc 1
		.amdhsa_float_round_mode_32 0
		.amdhsa_float_round_mode_16_64 0
		.amdhsa_float_denorm_mode_32 3
		.amdhsa_float_denorm_mode_16_64 3
		.amdhsa_dx10_clamp 1
		.amdhsa_ieee_mode 1
		.amdhsa_fp16_overflow 0
		.amdhsa_workgroup_processor_mode 1
		.amdhsa_memory_ordered 1
		.amdhsa_forward_progress 0
		.amdhsa_shared_vgpr_count 0
		.amdhsa_exception_fp_ieee_invalid_op 0
		.amdhsa_exception_fp_denorm_src 0
		.amdhsa_exception_fp_ieee_div_zero 0
		.amdhsa_exception_fp_ieee_overflow 0
		.amdhsa_exception_fp_ieee_underflow 0
		.amdhsa_exception_fp_ieee_inexact 0
		.amdhsa_exception_int_div_zero 0
	.end_amdhsa_kernel
	.section	.text._ZL26rocblas_haxpy_mlt_8_kernelILi256EPKDF16_PKPK16rocblas_bfloat16PKPS2_EviT0_lT1_llT2_lli,"axG",@progbits,_ZL26rocblas_haxpy_mlt_8_kernelILi256EPKDF16_PKPK16rocblas_bfloat16PKPS2_EviT0_lT1_llT2_lli,comdat
.Lfunc_end160:
	.size	_ZL26rocblas_haxpy_mlt_8_kernelILi256EPKDF16_PKPK16rocblas_bfloat16PKPS2_EviT0_lT1_llT2_lli, .Lfunc_end160-_ZL26rocblas_haxpy_mlt_8_kernelILi256EPKDF16_PKPK16rocblas_bfloat16PKPS2_EviT0_lT1_llT2_lli
                                        ; -- End function
	.section	.AMDGPU.csdata,"",@progbits
; Kernel info:
; codeLenInByte = 340
; NumSgprs: 18
; NumVgprs: 11
; ScratchSize: 0
; MemoryBound: 0
; FloatMode: 240
; IeeeMode: 1
; LDSByteSize: 0 bytes/workgroup (compile time only)
; SGPRBlocks: 2
; VGPRBlocks: 1
; NumSGPRsForWavesPerEU: 18
; NumVGPRsForWavesPerEU: 11
; Occupancy: 16
; WaveLimiterHint : 1
; COMPUTE_PGM_RSRC2:SCRATCH_EN: 0
; COMPUTE_PGM_RSRC2:USER_SGPR: 14
; COMPUTE_PGM_RSRC2:TRAP_HANDLER: 0
; COMPUTE_PGM_RSRC2:TGID_X_EN: 1
; COMPUTE_PGM_RSRC2:TGID_Y_EN: 0
; COMPUTE_PGM_RSRC2:TGID_Z_EN: 1
; COMPUTE_PGM_RSRC2:TIDIG_COMP_CNT: 0
	.section	.text._ZL26rocblas_haxpy_mod_8_kernelILi256EPK16rocblas_bfloat16PKS2_PKPS0_EviT0_lT1_llT2_lli,"axG",@progbits,_ZL26rocblas_haxpy_mod_8_kernelILi256EPK16rocblas_bfloat16PKS2_PKPS0_EviT0_lT1_llT2_lli,comdat
	.globl	_ZL26rocblas_haxpy_mod_8_kernelILi256EPK16rocblas_bfloat16PKS2_PKPS0_EviT0_lT1_llT2_lli ; -- Begin function _ZL26rocblas_haxpy_mod_8_kernelILi256EPK16rocblas_bfloat16PKS2_PKPS0_EviT0_lT1_llT2_lli
	.p2align	8
	.type	_ZL26rocblas_haxpy_mod_8_kernelILi256EPK16rocblas_bfloat16PKS2_PKPS0_EviT0_lT1_llT2_lli,@function
_ZL26rocblas_haxpy_mod_8_kernelILi256EPK16rocblas_bfloat16PKS2_PKPS0_EviT0_lT1_llT2_lli: ; @_ZL26rocblas_haxpy_mod_8_kernelILi256EPK16rocblas_bfloat16PKS2_PKPS0_EviT0_lT1_llT2_lli
; %bb.0:
	s_clause 0x1
	s_load_b256 s[4:11], s[0:1], 0x8
	s_load_b32 s2, s[0:1], 0x0
	v_mov_b32_e32 v1, 0
	v_lshl_or_b32 v0, s14, 8, v0
	s_mov_b32 s13, 0
	s_waitcnt lgkmcnt(0)
	s_mul_i32 s3, s15, s7
	s_mul_hi_u32 s7, s15, s6
	s_mul_i32 s6, s15, s6
	s_add_i32 s7, s7, s3
	s_ashr_i32 s3, s2, 31
	s_lshl_b64 s[6:7], s[6:7], 1
	v_cmp_gt_i64_e32 vcc_lo, s[2:3], v[0:1]
	s_add_u32 s4, s4, s6
	s_addc_u32 s5, s5, s7
	global_load_u16 v2, v1, s[4:5]
	s_waitcnt vmcnt(0)
	v_and_b32_e32 v3, 0x7fff, v2
	s_delay_alu instid0(VALU_DEP_1) | instskip(NEXT) | instid1(VALU_DEP_1)
	v_cmp_ne_u16_e64 s2, 0, v3
	s_and_b32 s2, vcc_lo, s2
	s_delay_alu instid0(SALU_CYCLE_1)
	s_and_saveexec_b32 s3, s2
	s_cbranch_execz .LBB161_10
; %bb.1:
	s_mov_b32 s12, s15
	v_lshlrev_b64 v[0:1], 1, v[0:1]
	s_lshl_b64 s[4:5], s[12:13], 3
	v_and_b32_e32 v2, 0xffff, v2
	s_add_u32 s2, s8, s4
	s_addc_u32 s3, s9, s5
	s_lshl_b64 s[6:7], s[10:11], 1
	s_load_b64 s[2:3], s[2:3], 0x0
	v_lshlrev_b32_e32 v2, 16, v2
	s_waitcnt lgkmcnt(0)
	s_add_u32 s2, s6, s2
	s_addc_u32 s3, s7, s3
	v_add_co_u32 v3, vcc_lo, s2, v0
	v_add_co_ci_u32_e32 v4, vcc_lo, s3, v1, vcc_lo
	s_load_b128 s[0:3], s[0:1], 0x30
	global_load_u16 v3, v[3:4], off
	s_waitcnt lgkmcnt(0)
	s_add_u32 s0, s0, s4
	s_addc_u32 s1, s1, s5
	s_load_b64 s[0:1], s[0:1], 0x0
	s_waitcnt vmcnt(0)
	v_lshlrev_b32_e32 v3, 16, v3
	s_delay_alu instid0(VALU_DEP_1) | instskip(NEXT) | instid1(VALU_DEP_1)
	v_mul_f32_e32 v3, v2, v3
	v_and_b32_e32 v2, 0x7f800000, v3
	s_delay_alu instid0(VALU_DEP_1) | instskip(SKIP_1) | instid1(SALU_CYCLE_1)
	v_cmp_ne_u32_e32 vcc_lo, 0x7f800000, v2
                                        ; implicit-def: $vgpr2
	s_and_saveexec_b32 s4, vcc_lo
	s_xor_b32 s4, exec_lo, s4
; %bb.2:
	v_bfe_u32 v2, v3, 16, 1
	s_delay_alu instid0(VALU_DEP_1)
	v_add3_u32 v2, v3, v2, 0x7fff
                                        ; implicit-def: $vgpr3
; %bb.3:
	s_and_not1_saveexec_b32 s4, s4
; %bb.4:
	v_and_b32_e32 v2, 0xffff, v3
	v_or_b32_e32 v4, 0x10000, v3
	s_delay_alu instid0(VALU_DEP_2) | instskip(NEXT) | instid1(VALU_DEP_2)
	v_cmp_eq_u32_e32 vcc_lo, 0, v2
	v_cndmask_b32_e32 v2, v4, v3, vcc_lo
; %bb.5:
	s_or_b32 exec_lo, exec_lo, s4
	s_lshl_b64 s[2:3], s[2:3], 1
	s_delay_alu instid0(VALU_DEP_1)
	v_and_b32_e32 v2, 0xffff0000, v2
	s_waitcnt lgkmcnt(0)
	s_add_u32 s0, s2, s0
	s_addc_u32 s1, s3, s1
	v_add_co_u32 v0, vcc_lo, s0, v0
	v_add_co_ci_u32_e32 v1, vcc_lo, s1, v1, vcc_lo
	global_load_u16 v3, v[0:1], off
	s_waitcnt vmcnt(0)
	v_lshlrev_b32_e32 v3, 16, v3
	s_delay_alu instid0(VALU_DEP_1) | instskip(NEXT) | instid1(VALU_DEP_1)
	v_add_f32_e32 v2, v2, v3
	v_and_b32_e32 v3, 0x7f800000, v2
	s_delay_alu instid0(VALU_DEP_1) | instskip(SKIP_1) | instid1(SALU_CYCLE_1)
	v_cmp_ne_u32_e32 vcc_lo, 0x7f800000, v3
                                        ; implicit-def: $vgpr3
	s_and_saveexec_b32 s0, vcc_lo
	s_xor_b32 s0, exec_lo, s0
; %bb.6:
	v_bfe_u32 v3, v2, 16, 1
	s_delay_alu instid0(VALU_DEP_1)
	v_add3_u32 v3, v2, v3, 0x7fff
                                        ; implicit-def: $vgpr2
; %bb.7:
	s_and_not1_saveexec_b32 s0, s0
; %bb.8:
	v_and_b32_e32 v3, 0xffff, v2
	v_or_b32_e32 v4, 0x10000, v2
	s_delay_alu instid0(VALU_DEP_2) | instskip(NEXT) | instid1(VALU_DEP_2)
	v_cmp_eq_u32_e32 vcc_lo, 0, v3
	v_cndmask_b32_e32 v3, v4, v2, vcc_lo
; %bb.9:
	s_or_b32 exec_lo, exec_lo, s0
	global_store_d16_hi_b16 v[0:1], v3, off
.LBB161_10:
	s_nop 0
	s_sendmsg sendmsg(MSG_DEALLOC_VGPRS)
	s_endpgm
	.section	.rodata,"a",@progbits
	.p2align	6, 0x0
	.amdhsa_kernel _ZL26rocblas_haxpy_mod_8_kernelILi256EPK16rocblas_bfloat16PKS2_PKPS0_EviT0_lT1_llT2_lli
		.amdhsa_group_segment_fixed_size 0
		.amdhsa_private_segment_fixed_size 0
		.amdhsa_kernarg_size 76
		.amdhsa_user_sgpr_count 14
		.amdhsa_user_sgpr_dispatch_ptr 0
		.amdhsa_user_sgpr_queue_ptr 0
		.amdhsa_user_sgpr_kernarg_segment_ptr 1
		.amdhsa_user_sgpr_dispatch_id 0
		.amdhsa_user_sgpr_private_segment_size 0
		.amdhsa_wavefront_size32 1
		.amdhsa_uses_dynamic_stack 0
		.amdhsa_enable_private_segment 0
		.amdhsa_system_sgpr_workgroup_id_x 1
		.amdhsa_system_sgpr_workgroup_id_y 0
		.amdhsa_system_sgpr_workgroup_id_z 1
		.amdhsa_system_sgpr_workgroup_info 0
		.amdhsa_system_vgpr_workitem_id 0
		.amdhsa_next_free_vgpr 5
		.amdhsa_next_free_sgpr 16
		.amdhsa_reserve_vcc 1
		.amdhsa_float_round_mode_32 0
		.amdhsa_float_round_mode_16_64 0
		.amdhsa_float_denorm_mode_32 3
		.amdhsa_float_denorm_mode_16_64 3
		.amdhsa_dx10_clamp 1
		.amdhsa_ieee_mode 1
		.amdhsa_fp16_overflow 0
		.amdhsa_workgroup_processor_mode 1
		.amdhsa_memory_ordered 1
		.amdhsa_forward_progress 0
		.amdhsa_shared_vgpr_count 0
		.amdhsa_exception_fp_ieee_invalid_op 0
		.amdhsa_exception_fp_denorm_src 0
		.amdhsa_exception_fp_ieee_div_zero 0
		.amdhsa_exception_fp_ieee_overflow 0
		.amdhsa_exception_fp_ieee_underflow 0
		.amdhsa_exception_fp_ieee_inexact 0
		.amdhsa_exception_int_div_zero 0
	.end_amdhsa_kernel
	.section	.text._ZL26rocblas_haxpy_mod_8_kernelILi256EPK16rocblas_bfloat16PKS2_PKPS0_EviT0_lT1_llT2_lli,"axG",@progbits,_ZL26rocblas_haxpy_mod_8_kernelILi256EPK16rocblas_bfloat16PKS2_PKPS0_EviT0_lT1_llT2_lli,comdat
.Lfunc_end161:
	.size	_ZL26rocblas_haxpy_mod_8_kernelILi256EPK16rocblas_bfloat16PKS2_PKPS0_EviT0_lT1_llT2_lli, .Lfunc_end161-_ZL26rocblas_haxpy_mod_8_kernelILi256EPK16rocblas_bfloat16PKS2_PKPS0_EviT0_lT1_llT2_lli
                                        ; -- End function
	.section	.AMDGPU.csdata,"",@progbits
; Kernel info:
; codeLenInByte = 508
; NumSgprs: 18
; NumVgprs: 5
; ScratchSize: 0
; MemoryBound: 0
; FloatMode: 240
; IeeeMode: 1
; LDSByteSize: 0 bytes/workgroup (compile time only)
; SGPRBlocks: 2
; VGPRBlocks: 0
; NumSGPRsForWavesPerEU: 18
; NumVGPRsForWavesPerEU: 5
; Occupancy: 16
; WaveLimiterHint : 1
; COMPUTE_PGM_RSRC2:SCRATCH_EN: 0
; COMPUTE_PGM_RSRC2:USER_SGPR: 14
; COMPUTE_PGM_RSRC2:TRAP_HANDLER: 0
; COMPUTE_PGM_RSRC2:TGID_X_EN: 1
; COMPUTE_PGM_RSRC2:TGID_Y_EN: 0
; COMPUTE_PGM_RSRC2:TGID_Z_EN: 1
; COMPUTE_PGM_RSRC2:TIDIG_COMP_CNT: 0
	.section	.text._ZL26rocblas_haxpy_mlt_8_kernelILi256EDF16_PKPK16rocblas_bfloat16PKPS0_EviT0_lT1_llT2_lli,"axG",@progbits,_ZL26rocblas_haxpy_mlt_8_kernelILi256EDF16_PKPK16rocblas_bfloat16PKPS0_EviT0_lT1_llT2_lli,comdat
	.globl	_ZL26rocblas_haxpy_mlt_8_kernelILi256EDF16_PKPK16rocblas_bfloat16PKPS0_EviT0_lT1_llT2_lli ; -- Begin function _ZL26rocblas_haxpy_mlt_8_kernelILi256EDF16_PKPK16rocblas_bfloat16PKPS0_EviT0_lT1_llT2_lli
	.p2align	8
	.type	_ZL26rocblas_haxpy_mlt_8_kernelILi256EDF16_PKPK16rocblas_bfloat16PKPS0_EviT0_lT1_llT2_lli,@function
_ZL26rocblas_haxpy_mlt_8_kernelILi256EDF16_PKPK16rocblas_bfloat16PKPS0_EviT0_lT1_llT2_lli: ; @_ZL26rocblas_haxpy_mlt_8_kernelILi256EDF16_PKPK16rocblas_bfloat16PKPS0_EviT0_lT1_llT2_lli
; %bb.0:
	s_load_b64 s[2:3], s[0:1], 0x0
	s_waitcnt lgkmcnt(0)
	s_pack_ll_b32_b16 s5, s3, s3
	s_delay_alu instid0(SALU_CYCLE_1) | instskip(NEXT) | instid1(SALU_CYCLE_1)
	s_and_b32 s5, s5, 0x7fff
	s_cmp_eq_u32 s5, 0
	s_cbranch_scc1 .LBB162_3
; %bb.1:
	v_lshl_or_b32 v0, s14, 8, v0
	v_mov_b32_e32 v1, 0
	s_ashr_i32 s7, s2, 31
	s_mov_b32 s6, s2
	s_mov_b32 s2, exec_lo
	s_delay_alu instid0(VALU_DEP_1) | instskip(NEXT) | instid1(VALU_DEP_1)
	v_lshlrev_b64 v[0:1], 3, v[0:1]
	v_cmpx_gt_i64_e64 s[6:7], v[0:1]
	s_cbranch_execz .LBB162_3
; %bb.2:
	s_load_b128 s[8:11], s[0:1], 0x10
	s_mov_b32 s4, s15
	s_mov_b32 s5, 0
	v_lshlrev_b64 v[0:1], 1, v[0:1]
	s_lshl_b64 s[12:13], s[4:5], 3
	s_load_b128 s[4:7], s[0:1], 0x28
	s_waitcnt lgkmcnt(0)
	s_add_u32 s0, s8, s12
	s_addc_u32 s1, s9, s13
	s_lshl_b64 s[8:9], s[10:11], 1
	s_load_b64 s[0:1], s[0:1], 0x0
	s_waitcnt lgkmcnt(0)
	s_add_u32 s2, s8, s0
	s_addc_u32 s8, s9, s1
	s_add_u32 s0, s4, s12
	s_addc_u32 s1, s5, s13
	s_lshl_b64 s[4:5], s[6:7], 1
	s_load_b64 s[0:1], s[0:1], 0x0
	v_add_co_u32 v2, vcc_lo, s2, v0
	v_add_co_ci_u32_e32 v3, vcc_lo, s8, v1, vcc_lo
	s_waitcnt lgkmcnt(0)
	s_add_u32 s0, s4, s0
	s_addc_u32 s1, s5, s1
	v_add_co_u32 v8, vcc_lo, s0, v0
	v_add_co_ci_u32_e32 v9, vcc_lo, s1, v1, vcc_lo
	global_load_b128 v[0:3], v[2:3], off
	global_load_b128 v[4:7], v[8:9], off
	s_waitcnt vmcnt(0)
	v_pk_fma_f16 v3, s3, v3, v7 op_sel_hi:[0,1,1]
	v_pk_fma_f16 v2, s3, v2, v6 op_sel_hi:[0,1,1]
	;; [unrolled: 1-line block ×4, first 2 shown]
	global_store_b128 v[8:9], v[0:3], off
.LBB162_3:
	s_nop 0
	s_sendmsg sendmsg(MSG_DEALLOC_VGPRS)
	s_endpgm
	.section	.rodata,"a",@progbits
	.p2align	6, 0x0
	.amdhsa_kernel _ZL26rocblas_haxpy_mlt_8_kernelILi256EDF16_PKPK16rocblas_bfloat16PKPS0_EviT0_lT1_llT2_lli
		.amdhsa_group_segment_fixed_size 0
		.amdhsa_private_segment_fixed_size 0
		.amdhsa_kernarg_size 68
		.amdhsa_user_sgpr_count 14
		.amdhsa_user_sgpr_dispatch_ptr 0
		.amdhsa_user_sgpr_queue_ptr 0
		.amdhsa_user_sgpr_kernarg_segment_ptr 1
		.amdhsa_user_sgpr_dispatch_id 0
		.amdhsa_user_sgpr_private_segment_size 0
		.amdhsa_wavefront_size32 1
		.amdhsa_uses_dynamic_stack 0
		.amdhsa_enable_private_segment 0
		.amdhsa_system_sgpr_workgroup_id_x 1
		.amdhsa_system_sgpr_workgroup_id_y 0
		.amdhsa_system_sgpr_workgroup_id_z 1
		.amdhsa_system_sgpr_workgroup_info 0
		.amdhsa_system_vgpr_workitem_id 0
		.amdhsa_next_free_vgpr 10
		.amdhsa_next_free_sgpr 16
		.amdhsa_reserve_vcc 1
		.amdhsa_float_round_mode_32 0
		.amdhsa_float_round_mode_16_64 0
		.amdhsa_float_denorm_mode_32 3
		.amdhsa_float_denorm_mode_16_64 3
		.amdhsa_dx10_clamp 1
		.amdhsa_ieee_mode 1
		.amdhsa_fp16_overflow 0
		.amdhsa_workgroup_processor_mode 1
		.amdhsa_memory_ordered 1
		.amdhsa_forward_progress 0
		.amdhsa_shared_vgpr_count 0
		.amdhsa_exception_fp_ieee_invalid_op 0
		.amdhsa_exception_fp_denorm_src 0
		.amdhsa_exception_fp_ieee_div_zero 0
		.amdhsa_exception_fp_ieee_overflow 0
		.amdhsa_exception_fp_ieee_underflow 0
		.amdhsa_exception_fp_ieee_inexact 0
		.amdhsa_exception_int_div_zero 0
	.end_amdhsa_kernel
	.section	.text._ZL26rocblas_haxpy_mlt_8_kernelILi256EDF16_PKPK16rocblas_bfloat16PKPS0_EviT0_lT1_llT2_lli,"axG",@progbits,_ZL26rocblas_haxpy_mlt_8_kernelILi256EDF16_PKPK16rocblas_bfloat16PKPS0_EviT0_lT1_llT2_lli,comdat
.Lfunc_end162:
	.size	_ZL26rocblas_haxpy_mlt_8_kernelILi256EDF16_PKPK16rocblas_bfloat16PKPS0_EviT0_lT1_llT2_lli, .Lfunc_end162-_ZL26rocblas_haxpy_mlt_8_kernelILi256EDF16_PKPK16rocblas_bfloat16PKPS0_EviT0_lT1_llT2_lli
                                        ; -- End function
	.section	.AMDGPU.csdata,"",@progbits
; Kernel info:
; codeLenInByte = 284
; NumSgprs: 18
; NumVgprs: 10
; ScratchSize: 0
; MemoryBound: 0
; FloatMode: 240
; IeeeMode: 1
; LDSByteSize: 0 bytes/workgroup (compile time only)
; SGPRBlocks: 2
; VGPRBlocks: 1
; NumSGPRsForWavesPerEU: 18
; NumVGPRsForWavesPerEU: 10
; Occupancy: 16
; WaveLimiterHint : 1
; COMPUTE_PGM_RSRC2:SCRATCH_EN: 0
; COMPUTE_PGM_RSRC2:USER_SGPR: 14
; COMPUTE_PGM_RSRC2:TRAP_HANDLER: 0
; COMPUTE_PGM_RSRC2:TGID_X_EN: 1
; COMPUTE_PGM_RSRC2:TGID_Y_EN: 0
; COMPUTE_PGM_RSRC2:TGID_Z_EN: 1
; COMPUTE_PGM_RSRC2:TIDIG_COMP_CNT: 0
	.section	.text._ZL26rocblas_haxpy_mod_8_kernelILi256E16rocblas_bfloat16PKPKS0_PKPS0_EviT0_lT1_llT2_lli,"axG",@progbits,_ZL26rocblas_haxpy_mod_8_kernelILi256E16rocblas_bfloat16PKPKS0_PKPS0_EviT0_lT1_llT2_lli,comdat
	.globl	_ZL26rocblas_haxpy_mod_8_kernelILi256E16rocblas_bfloat16PKPKS0_PKPS0_EviT0_lT1_llT2_lli ; -- Begin function _ZL26rocblas_haxpy_mod_8_kernelILi256E16rocblas_bfloat16PKPKS0_PKPS0_EviT0_lT1_llT2_lli
	.p2align	8
	.type	_ZL26rocblas_haxpy_mod_8_kernelILi256E16rocblas_bfloat16PKPKS0_PKPS0_EviT0_lT1_llT2_lli,@function
_ZL26rocblas_haxpy_mod_8_kernelILi256E16rocblas_bfloat16PKPKS0_PKPS0_EviT0_lT1_llT2_lli: ; @_ZL26rocblas_haxpy_mod_8_kernelILi256E16rocblas_bfloat16PKPKS0_PKPS0_EviT0_lT1_llT2_lli
; %bb.0:
	s_load_b64 s[2:3], s[0:1], 0x0
	v_lshl_or_b32 v0, s14, 8, v0
	v_mov_b32_e32 v1, 0
	s_mov_b32 s5, 0
	s_waitcnt lgkmcnt(0)
	v_and_b32_e64 v2, 0x7fff, s3
	s_ashr_i32 s7, s2, 31
	s_mov_b32 s6, s2
	s_delay_alu instid0(SALU_CYCLE_1) | instskip(NEXT) | instid1(VALU_DEP_2)
	v_cmp_gt_i64_e32 vcc_lo, s[6:7], v[0:1]
	v_cmp_ne_u16_e64 s2, 0, v2
	s_delay_alu instid0(VALU_DEP_1) | instskip(NEXT) | instid1(SALU_CYCLE_1)
	s_and_b32 s2, vcc_lo, s2
	s_and_saveexec_b32 s6, s2
	s_cbranch_execz .LBB163_10
; %bb.1:
	s_load_b128 s[8:11], s[0:1], 0x10
	s_mov_b32 s4, s15
	s_and_b32 s12, s3, 0xffff
	s_lshl_b64 s[4:5], s[4:5], 3
	v_lshlrev_b64 v[0:1], 1, v[0:1]
	s_load_b128 s[0:3], s[0:1], 0x28
	s_waitcnt lgkmcnt(0)
	s_add_u32 s6, s8, s4
	s_addc_u32 s7, s9, s5
	s_lshl_b64 s[8:9], s[10:11], 1
	s_load_b64 s[6:7], s[6:7], 0x0
	s_waitcnt lgkmcnt(0)
	s_add_u32 s6, s8, s6
	s_addc_u32 s7, s9, s7
	v_add_co_u32 v2, vcc_lo, s6, v0
	v_add_co_ci_u32_e32 v3, vcc_lo, s7, v1, vcc_lo
	s_add_u32 s0, s0, s4
	s_addc_u32 s1, s1, s5
	s_lshl_b32 s4, s12, 16
	global_load_u16 v2, v[2:3], off
	s_load_b64 s[0:1], s[0:1], 0x0
	s_waitcnt vmcnt(0)
	v_lshlrev_b32_e32 v2, 16, v2
	s_delay_alu instid0(VALU_DEP_1) | instskip(NEXT) | instid1(VALU_DEP_1)
	v_mul_f32_e32 v3, s4, v2
	v_and_b32_e32 v2, 0x7f800000, v3
	s_delay_alu instid0(VALU_DEP_1) | instskip(SKIP_1) | instid1(SALU_CYCLE_1)
	v_cmp_ne_u32_e32 vcc_lo, 0x7f800000, v2
                                        ; implicit-def: $vgpr2
	s_and_saveexec_b32 s4, vcc_lo
	s_xor_b32 s4, exec_lo, s4
; %bb.2:
	v_bfe_u32 v2, v3, 16, 1
	s_delay_alu instid0(VALU_DEP_1)
	v_add3_u32 v2, v3, v2, 0x7fff
                                        ; implicit-def: $vgpr3
; %bb.3:
	s_and_not1_saveexec_b32 s4, s4
; %bb.4:
	v_and_b32_e32 v2, 0xffff, v3
	v_or_b32_e32 v4, 0x10000, v3
	s_delay_alu instid0(VALU_DEP_2) | instskip(NEXT) | instid1(VALU_DEP_2)
	v_cmp_eq_u32_e32 vcc_lo, 0, v2
	v_cndmask_b32_e32 v2, v4, v3, vcc_lo
; %bb.5:
	s_or_b32 exec_lo, exec_lo, s4
	s_lshl_b64 s[2:3], s[2:3], 1
	s_delay_alu instid0(VALU_DEP_1)
	v_and_b32_e32 v2, 0xffff0000, v2
	s_waitcnt lgkmcnt(0)
	s_add_u32 s0, s2, s0
	s_addc_u32 s1, s3, s1
	v_add_co_u32 v0, vcc_lo, s0, v0
	v_add_co_ci_u32_e32 v1, vcc_lo, s1, v1, vcc_lo
	global_load_u16 v3, v[0:1], off
	s_waitcnt vmcnt(0)
	v_lshlrev_b32_e32 v3, 16, v3
	s_delay_alu instid0(VALU_DEP_1) | instskip(NEXT) | instid1(VALU_DEP_1)
	v_add_f32_e32 v2, v2, v3
	v_and_b32_e32 v3, 0x7f800000, v2
	s_delay_alu instid0(VALU_DEP_1) | instskip(SKIP_1) | instid1(SALU_CYCLE_1)
	v_cmp_ne_u32_e32 vcc_lo, 0x7f800000, v3
                                        ; implicit-def: $vgpr3
	s_and_saveexec_b32 s0, vcc_lo
	s_xor_b32 s0, exec_lo, s0
; %bb.6:
	v_bfe_u32 v3, v2, 16, 1
	s_delay_alu instid0(VALU_DEP_1)
	v_add3_u32 v3, v2, v3, 0x7fff
                                        ; implicit-def: $vgpr2
; %bb.7:
	s_and_not1_saveexec_b32 s0, s0
; %bb.8:
	v_and_b32_e32 v3, 0xffff, v2
	v_or_b32_e32 v4, 0x10000, v2
	s_delay_alu instid0(VALU_DEP_2) | instskip(NEXT) | instid1(VALU_DEP_2)
	v_cmp_eq_u32_e32 vcc_lo, 0, v3
	v_cndmask_b32_e32 v3, v4, v2, vcc_lo
; %bb.9:
	s_or_b32 exec_lo, exec_lo, s0
	global_store_d16_hi_b16 v[0:1], v3, off
.LBB163_10:
	s_nop 0
	s_sendmsg sendmsg(MSG_DEALLOC_VGPRS)
	s_endpgm
	.section	.rodata,"a",@progbits
	.p2align	6, 0x0
	.amdhsa_kernel _ZL26rocblas_haxpy_mod_8_kernelILi256E16rocblas_bfloat16PKPKS0_PKPS0_EviT0_lT1_llT2_lli
		.amdhsa_group_segment_fixed_size 0
		.amdhsa_private_segment_fixed_size 0
		.amdhsa_kernarg_size 68
		.amdhsa_user_sgpr_count 14
		.amdhsa_user_sgpr_dispatch_ptr 0
		.amdhsa_user_sgpr_queue_ptr 0
		.amdhsa_user_sgpr_kernarg_segment_ptr 1
		.amdhsa_user_sgpr_dispatch_id 0
		.amdhsa_user_sgpr_private_segment_size 0
		.amdhsa_wavefront_size32 1
		.amdhsa_uses_dynamic_stack 0
		.amdhsa_enable_private_segment 0
		.amdhsa_system_sgpr_workgroup_id_x 1
		.amdhsa_system_sgpr_workgroup_id_y 0
		.amdhsa_system_sgpr_workgroup_id_z 1
		.amdhsa_system_sgpr_workgroup_info 0
		.amdhsa_system_vgpr_workitem_id 0
		.amdhsa_next_free_vgpr 5
		.amdhsa_next_free_sgpr 16
		.amdhsa_reserve_vcc 1
		.amdhsa_float_round_mode_32 0
		.amdhsa_float_round_mode_16_64 0
		.amdhsa_float_denorm_mode_32 3
		.amdhsa_float_denorm_mode_16_64 3
		.amdhsa_dx10_clamp 1
		.amdhsa_ieee_mode 1
		.amdhsa_fp16_overflow 0
		.amdhsa_workgroup_processor_mode 1
		.amdhsa_memory_ordered 1
		.amdhsa_forward_progress 0
		.amdhsa_shared_vgpr_count 0
		.amdhsa_exception_fp_ieee_invalid_op 0
		.amdhsa_exception_fp_denorm_src 0
		.amdhsa_exception_fp_ieee_div_zero 0
		.amdhsa_exception_fp_ieee_overflow 0
		.amdhsa_exception_fp_ieee_underflow 0
		.amdhsa_exception_fp_ieee_inexact 0
		.amdhsa_exception_int_div_zero 0
	.end_amdhsa_kernel
	.section	.text._ZL26rocblas_haxpy_mod_8_kernelILi256E16rocblas_bfloat16PKPKS0_PKPS0_EviT0_lT1_llT2_lli,"axG",@progbits,_ZL26rocblas_haxpy_mod_8_kernelILi256E16rocblas_bfloat16PKPKS0_PKPS0_EviT0_lT1_llT2_lli,comdat
.Lfunc_end163:
	.size	_ZL26rocblas_haxpy_mod_8_kernelILi256E16rocblas_bfloat16PKPKS0_PKPS0_EviT0_lT1_llT2_lli, .Lfunc_end163-_ZL26rocblas_haxpy_mod_8_kernelILi256E16rocblas_bfloat16PKPKS0_PKPS0_EviT0_lT1_llT2_lli
                                        ; -- End function
	.section	.AMDGPU.csdata,"",@progbits
; Kernel info:
; codeLenInByte = 472
; NumSgprs: 18
; NumVgprs: 5
; ScratchSize: 0
; MemoryBound: 0
; FloatMode: 240
; IeeeMode: 1
; LDSByteSize: 0 bytes/workgroup (compile time only)
; SGPRBlocks: 2
; VGPRBlocks: 0
; NumSGPRsForWavesPerEU: 18
; NumVGPRsForWavesPerEU: 5
; Occupancy: 16
; WaveLimiterHint : 1
; COMPUTE_PGM_RSRC2:SCRATCH_EN: 0
; COMPUTE_PGM_RSRC2:USER_SGPR: 14
; COMPUTE_PGM_RSRC2:TRAP_HANDLER: 0
; COMPUTE_PGM_RSRC2:TGID_X_EN: 1
; COMPUTE_PGM_RSRC2:TGID_Y_EN: 0
; COMPUTE_PGM_RSRC2:TGID_Z_EN: 1
; COMPUTE_PGM_RSRC2:TIDIG_COMP_CNT: 0
	.section	.text._ZL22rocblas_saxpy_2_kernelILi256EfPK16rocblas_bfloat16PKS2_PKPS0_EviT1_lT2_llT3_lli,"axG",@progbits,_ZL22rocblas_saxpy_2_kernelILi256EfPK16rocblas_bfloat16PKS2_PKPS0_EviT1_lT2_llT3_lli,comdat
	.globl	_ZL22rocblas_saxpy_2_kernelILi256EfPK16rocblas_bfloat16PKS2_PKPS0_EviT1_lT2_llT3_lli ; -- Begin function _ZL22rocblas_saxpy_2_kernelILi256EfPK16rocblas_bfloat16PKS2_PKPS0_EviT1_lT2_llT3_lli
	.p2align	8
	.type	_ZL22rocblas_saxpy_2_kernelILi256EfPK16rocblas_bfloat16PKS2_PKPS0_EviT1_lT2_llT3_lli,@function
_ZL22rocblas_saxpy_2_kernelILi256EfPK16rocblas_bfloat16PKS2_PKPS0_EviT1_lT2_llT3_lli: ; @_ZL22rocblas_saxpy_2_kernelILi256EfPK16rocblas_bfloat16PKS2_PKPS0_EviT1_lT2_llT3_lli
; %bb.0:
	s_load_b128 s[4:7], s[0:1], 0x8
	v_mov_b32_e32 v1, 0
	s_waitcnt lgkmcnt(0)
	s_mul_i32 s3, s15, s7
	s_mul_hi_u32 s7, s15, s6
	s_mul_i32 s6, s15, s6
	s_add_i32 s7, s7, s3
	s_mov_b32 s3, 0
	s_lshl_b64 s[6:7], s[6:7], 1
	s_delay_alu instid0(SALU_CYCLE_1) | instskip(SKIP_4) | instid1(VALU_DEP_1)
	s_add_u32 s4, s4, s6
	s_addc_u32 s5, s5, s7
	global_load_u16 v2, v1, s[4:5]
	s_waitcnt vmcnt(0)
	v_and_b32_e32 v3, 0x7fff, v2
	v_cmp_eq_u16_e32 vcc_lo, 0, v3
	s_cbranch_vccnz .LBB164_29
; %bb.1:
	s_clause 0x1
	s_load_b128 s[8:11], s[0:1], 0x18
	s_load_b32 s6, s[0:1], 0x0
	s_mov_b32 s2, s15
	v_lshlrev_b32_e32 v0, 1, v0
	s_lshl_b64 s[4:5], s[2:3], 3
	v_and_b32_e32 v4, 0xffff, v2
	s_mov_b32 s7, exec_lo
	s_delay_alu instid0(VALU_DEP_2) | instskip(NEXT) | instid1(VALU_DEP_2)
	v_lshl_or_b32 v0, s14, 9, v0
	v_lshlrev_b32_e32 v8, 16, v4
	s_delay_alu instid0(VALU_DEP_2)
	v_lshlrev_b64 v[2:3], 1, v[0:1]
	s_waitcnt lgkmcnt(0)
	s_add_u32 s2, s8, s4
	s_addc_u32 s3, s9, s5
	s_load_b64 s[2:3], s[2:3], 0x0
	s_load_b128 s[16:19], s[0:1], 0x30
	s_lshl_b64 s[0:1], s[10:11], 1
	s_waitcnt lgkmcnt(0)
	s_add_u32 s2, s2, s0
	s_addc_u32 s3, s3, s1
	s_add_u32 s0, s16, s4
	s_addc_u32 s1, s17, s5
	s_lshl_b64 s[4:5], s[18:19], 1
	s_load_b64 s[0:1], s[0:1], 0x0
	s_waitcnt lgkmcnt(0)
	s_add_u32 s4, s0, s4
	s_addc_u32 s5, s1, s5
	s_add_i32 s0, s6, -1
	s_delay_alu instid0(SALU_CYCLE_1) | instskip(NEXT) | instid1(SALU_CYCLE_1)
	s_ashr_i32 s1, s0, 31
	v_cmpx_gt_i64_e64 s[0:1], v[0:1]
	s_cbranch_execz .LBB164_19
; %bb.2:
	v_add_co_u32 v6, vcc_lo, s2, v2
	v_add_co_ci_u32_e32 v7, vcc_lo, s3, v3, vcc_lo
	v_add_co_u32 v4, vcc_lo, s4, v2
	v_add_co_ci_u32_e32 v5, vcc_lo, s5, v3, vcc_lo
	global_load_u16 v10, v[6:7], off
	global_load_u16 v9, v[4:5], off
	s_waitcnt vmcnt(1)
	v_lshlrev_b32_e32 v10, 16, v10
	s_delay_alu instid0(VALU_DEP_1) | instskip(NEXT) | instid1(VALU_DEP_1)
	v_mul_f32_e32 v10, v8, v10
	v_and_b32_e32 v11, 0x7f800000, v10
	s_delay_alu instid0(VALU_DEP_1) | instskip(SKIP_1) | instid1(SALU_CYCLE_1)
	v_cmp_ne_u32_e32 vcc_lo, 0x7f800000, v11
                                        ; implicit-def: $vgpr11
	s_and_saveexec_b32 s8, vcc_lo
	s_xor_b32 s8, exec_lo, s8
; %bb.3:
	v_bfe_u32 v11, v10, 16, 1
	s_delay_alu instid0(VALU_DEP_1)
	v_add3_u32 v11, v10, v11, 0x7fff
                                        ; implicit-def: $vgpr10
; %bb.4:
	s_and_not1_saveexec_b32 s8, s8
; %bb.5:
	v_and_b32_e32 v11, 0xffff, v10
	v_or_b32_e32 v12, 0x10000, v10
	s_delay_alu instid0(VALU_DEP_2) | instskip(NEXT) | instid1(VALU_DEP_2)
	v_cmp_eq_u32_e32 vcc_lo, 0, v11
	v_cndmask_b32_e32 v11, v12, v10, vcc_lo
; %bb.6:
	s_or_b32 exec_lo, exec_lo, s8
	s_delay_alu instid0(VALU_DEP_1) | instskip(SKIP_2) | instid1(VALU_DEP_1)
	v_and_b32_e32 v10, 0xffff0000, v11
	s_waitcnt vmcnt(0)
	v_lshlrev_b32_e32 v9, 16, v9
	v_add_f32_e32 v9, v9, v10
	s_delay_alu instid0(VALU_DEP_1) | instskip(NEXT) | instid1(VALU_DEP_1)
	v_and_b32_e32 v10, 0x7f800000, v9
	v_cmp_ne_u32_e32 vcc_lo, 0x7f800000, v10
                                        ; implicit-def: $vgpr10
	s_and_saveexec_b32 s8, vcc_lo
	s_delay_alu instid0(SALU_CYCLE_1)
	s_xor_b32 s8, exec_lo, s8
; %bb.7:
	v_bfe_u32 v10, v9, 16, 1
	s_delay_alu instid0(VALU_DEP_1)
	v_add3_u32 v10, v9, v10, 0x7fff
                                        ; implicit-def: $vgpr9
; %bb.8:
	s_and_not1_saveexec_b32 s8, s8
; %bb.9:
	v_and_b32_e32 v10, 0xffff, v9
	v_or_b32_e32 v11, 0x10000, v9
	s_delay_alu instid0(VALU_DEP_2) | instskip(NEXT) | instid1(VALU_DEP_2)
	v_cmp_eq_u32_e32 vcc_lo, 0, v10
	v_cndmask_b32_e32 v10, v11, v9, vcc_lo
; %bb.10:
	s_or_b32 exec_lo, exec_lo, s8
	global_store_d16_hi_b16 v[4:5], v10, off
	global_load_u16 v7, v[6:7], off offset:2
	global_load_u16 v6, v[4:5], off offset:2
	s_waitcnt vmcnt(1)
	v_lshlrev_b32_e32 v7, 16, v7
	s_delay_alu instid0(VALU_DEP_1) | instskip(NEXT) | instid1(VALU_DEP_1)
	v_mul_f32_e32 v7, v8, v7
	v_and_b32_e32 v9, 0x7f800000, v7
	s_delay_alu instid0(VALU_DEP_1) | instskip(SKIP_1) | instid1(SALU_CYCLE_1)
	v_cmp_ne_u32_e32 vcc_lo, 0x7f800000, v9
                                        ; implicit-def: $vgpr9
	s_and_saveexec_b32 s8, vcc_lo
	s_xor_b32 s8, exec_lo, s8
; %bb.11:
	v_bfe_u32 v9, v7, 16, 1
	s_delay_alu instid0(VALU_DEP_1)
	v_add3_u32 v9, v7, v9, 0x7fff
                                        ; implicit-def: $vgpr7
; %bb.12:
	s_and_not1_saveexec_b32 s8, s8
; %bb.13:
	v_and_b32_e32 v9, 0xffff, v7
	v_or_b32_e32 v10, 0x10000, v7
	s_delay_alu instid0(VALU_DEP_2) | instskip(NEXT) | instid1(VALU_DEP_2)
	v_cmp_eq_u32_e32 vcc_lo, 0, v9
	v_cndmask_b32_e32 v9, v10, v7, vcc_lo
; %bb.14:
	s_or_b32 exec_lo, exec_lo, s8
	s_delay_alu instid0(VALU_DEP_1) | instskip(SKIP_2) | instid1(VALU_DEP_1)
	v_and_b32_e32 v7, 0xffff0000, v9
	s_waitcnt vmcnt(0)
	v_lshlrev_b32_e32 v6, 16, v6
	v_add_f32_e32 v6, v6, v7
	s_delay_alu instid0(VALU_DEP_1) | instskip(NEXT) | instid1(VALU_DEP_1)
	v_and_b32_e32 v7, 0x7f800000, v6
	v_cmp_ne_u32_e32 vcc_lo, 0x7f800000, v7
                                        ; implicit-def: $vgpr7
	s_and_saveexec_b32 s8, vcc_lo
	s_delay_alu instid0(SALU_CYCLE_1)
	s_xor_b32 s8, exec_lo, s8
; %bb.15:
	v_bfe_u32 v7, v6, 16, 1
	s_delay_alu instid0(VALU_DEP_1)
	v_add3_u32 v7, v6, v7, 0x7fff
                                        ; implicit-def: $vgpr6
; %bb.16:
	s_and_not1_saveexec_b32 s8, s8
; %bb.17:
	v_and_b32_e32 v7, 0xffff, v6
	v_or_b32_e32 v9, 0x10000, v6
	s_delay_alu instid0(VALU_DEP_2) | instskip(NEXT) | instid1(VALU_DEP_2)
	v_cmp_eq_u32_e32 vcc_lo, 0, v7
	v_cndmask_b32_e32 v7, v9, v6, vcc_lo
; %bb.18:
	s_or_b32 exec_lo, exec_lo, s8
	global_store_d16_hi_b16 v[4:5], v7, off offset:2
.LBB164_19:
	s_or_b32 exec_lo, exec_lo, s7
	v_cmp_eq_u64_e32 vcc_lo, s[0:1], v[0:1]
	s_bitcmp1_b32 s6, 0
	s_cselect_b32 s0, -1, 0
	s_delay_alu instid0(SALU_CYCLE_1) | instskip(NEXT) | instid1(SALU_CYCLE_1)
	s_and_b32 s0, s0, vcc_lo
	s_and_saveexec_b32 s1, s0
	s_cbranch_execz .LBB164_29
; %bb.20:
	v_add_co_u32 v0, vcc_lo, s2, v2
	v_add_co_ci_u32_e32 v1, vcc_lo, s3, v3, vcc_lo
	global_load_u16 v4, v[0:1], off
	v_add_co_u32 v0, vcc_lo, s4, v2
	v_add_co_ci_u32_e32 v1, vcc_lo, s5, v3, vcc_lo
	global_load_u16 v2, v[0:1], off
	s_waitcnt vmcnt(1)
	v_lshlrev_b32_e32 v3, 16, v4
	s_delay_alu instid0(VALU_DEP_1) | instskip(NEXT) | instid1(VALU_DEP_1)
	v_mul_f32_e32 v3, v8, v3
	v_and_b32_e32 v4, 0x7f800000, v3
	s_delay_alu instid0(VALU_DEP_1) | instskip(SKIP_1) | instid1(SALU_CYCLE_1)
	v_cmp_ne_u32_e32 vcc_lo, 0x7f800000, v4
                                        ; implicit-def: $vgpr4
	s_and_saveexec_b32 s0, vcc_lo
	s_xor_b32 s0, exec_lo, s0
; %bb.21:
	v_bfe_u32 v4, v3, 16, 1
	s_delay_alu instid0(VALU_DEP_1)
	v_add3_u32 v4, v3, v4, 0x7fff
                                        ; implicit-def: $vgpr3
; %bb.22:
	s_and_not1_saveexec_b32 s0, s0
; %bb.23:
	v_and_b32_e32 v4, 0xffff, v3
	v_or_b32_e32 v5, 0x10000, v3
	s_delay_alu instid0(VALU_DEP_2) | instskip(NEXT) | instid1(VALU_DEP_2)
	v_cmp_eq_u32_e32 vcc_lo, 0, v4
	v_cndmask_b32_e32 v4, v5, v3, vcc_lo
; %bb.24:
	s_or_b32 exec_lo, exec_lo, s0
	s_delay_alu instid0(VALU_DEP_1) | instskip(SKIP_2) | instid1(VALU_DEP_1)
	v_and_b32_e32 v3, 0xffff0000, v4
	s_waitcnt vmcnt(0)
	v_lshlrev_b32_e32 v2, 16, v2
	v_add_f32_e32 v2, v2, v3
	s_delay_alu instid0(VALU_DEP_1) | instskip(NEXT) | instid1(VALU_DEP_1)
	v_and_b32_e32 v3, 0x7f800000, v2
	v_cmp_ne_u32_e32 vcc_lo, 0x7f800000, v3
                                        ; implicit-def: $vgpr3
	s_and_saveexec_b32 s0, vcc_lo
	s_delay_alu instid0(SALU_CYCLE_1)
	s_xor_b32 s0, exec_lo, s0
; %bb.25:
	v_bfe_u32 v3, v2, 16, 1
	s_delay_alu instid0(VALU_DEP_1)
	v_add3_u32 v3, v2, v3, 0x7fff
                                        ; implicit-def: $vgpr2
; %bb.26:
	s_and_not1_saveexec_b32 s0, s0
; %bb.27:
	v_and_b32_e32 v3, 0xffff, v2
	v_or_b32_e32 v4, 0x10000, v2
	s_delay_alu instid0(VALU_DEP_2) | instskip(NEXT) | instid1(VALU_DEP_2)
	v_cmp_eq_u32_e32 vcc_lo, 0, v3
	v_cndmask_b32_e32 v3, v4, v2, vcc_lo
; %bb.28:
	s_or_b32 exec_lo, exec_lo, s0
	global_store_d16_hi_b16 v[0:1], v3, off
.LBB164_29:
	s_nop 0
	s_sendmsg sendmsg(MSG_DEALLOC_VGPRS)
	s_endpgm
	.section	.rodata,"a",@progbits
	.p2align	6, 0x0
	.amdhsa_kernel _ZL22rocblas_saxpy_2_kernelILi256EfPK16rocblas_bfloat16PKS2_PKPS0_EviT1_lT2_llT3_lli
		.amdhsa_group_segment_fixed_size 0
		.amdhsa_private_segment_fixed_size 0
		.amdhsa_kernarg_size 76
		.amdhsa_user_sgpr_count 14
		.amdhsa_user_sgpr_dispatch_ptr 0
		.amdhsa_user_sgpr_queue_ptr 0
		.amdhsa_user_sgpr_kernarg_segment_ptr 1
		.amdhsa_user_sgpr_dispatch_id 0
		.amdhsa_user_sgpr_private_segment_size 0
		.amdhsa_wavefront_size32 1
		.amdhsa_uses_dynamic_stack 0
		.amdhsa_enable_private_segment 0
		.amdhsa_system_sgpr_workgroup_id_x 1
		.amdhsa_system_sgpr_workgroup_id_y 0
		.amdhsa_system_sgpr_workgroup_id_z 1
		.amdhsa_system_sgpr_workgroup_info 0
		.amdhsa_system_vgpr_workitem_id 0
		.amdhsa_next_free_vgpr 13
		.amdhsa_next_free_sgpr 20
		.amdhsa_reserve_vcc 1
		.amdhsa_float_round_mode_32 0
		.amdhsa_float_round_mode_16_64 0
		.amdhsa_float_denorm_mode_32 3
		.amdhsa_float_denorm_mode_16_64 3
		.amdhsa_dx10_clamp 1
		.amdhsa_ieee_mode 1
		.amdhsa_fp16_overflow 0
		.amdhsa_workgroup_processor_mode 1
		.amdhsa_memory_ordered 1
		.amdhsa_forward_progress 0
		.amdhsa_shared_vgpr_count 0
		.amdhsa_exception_fp_ieee_invalid_op 0
		.amdhsa_exception_fp_denorm_src 0
		.amdhsa_exception_fp_ieee_div_zero 0
		.amdhsa_exception_fp_ieee_overflow 0
		.amdhsa_exception_fp_ieee_underflow 0
		.amdhsa_exception_fp_ieee_inexact 0
		.amdhsa_exception_int_div_zero 0
	.end_amdhsa_kernel
	.section	.text._ZL22rocblas_saxpy_2_kernelILi256EfPK16rocblas_bfloat16PKS2_PKPS0_EviT1_lT2_llT3_lli,"axG",@progbits,_ZL22rocblas_saxpy_2_kernelILi256EfPK16rocblas_bfloat16PKS2_PKPS0_EviT1_lT2_llT3_lli,comdat
.Lfunc_end164:
	.size	_ZL22rocblas_saxpy_2_kernelILi256EfPK16rocblas_bfloat16PKS2_PKPS0_EviT1_lT2_llT3_lli, .Lfunc_end164-_ZL22rocblas_saxpy_2_kernelILi256EfPK16rocblas_bfloat16PKS2_PKPS0_EviT1_lT2_llT3_lli
                                        ; -- End function
	.section	.AMDGPU.csdata,"",@progbits
; Kernel info:
; codeLenInByte = 1076
; NumSgprs: 22
; NumVgprs: 13
; ScratchSize: 0
; MemoryBound: 0
; FloatMode: 240
; IeeeMode: 1
; LDSByteSize: 0 bytes/workgroup (compile time only)
; SGPRBlocks: 2
; VGPRBlocks: 1
; NumSGPRsForWavesPerEU: 22
; NumVGPRsForWavesPerEU: 13
; Occupancy: 16
; WaveLimiterHint : 1
; COMPUTE_PGM_RSRC2:SCRATCH_EN: 0
; COMPUTE_PGM_RSRC2:USER_SGPR: 14
; COMPUTE_PGM_RSRC2:TRAP_HANDLER: 0
; COMPUTE_PGM_RSRC2:TGID_X_EN: 1
; COMPUTE_PGM_RSRC2:TGID_Y_EN: 0
; COMPUTE_PGM_RSRC2:TGID_Z_EN: 1
; COMPUTE_PGM_RSRC2:TIDIG_COMP_CNT: 0
	.section	.text._ZL22rocblas_saxpy_2_kernelILi256Ef16rocblas_bfloat16PKPKS0_PKPS0_EviT1_lT2_llT3_lli,"axG",@progbits,_ZL22rocblas_saxpy_2_kernelILi256Ef16rocblas_bfloat16PKPKS0_PKPS0_EviT1_lT2_llT3_lli,comdat
	.globl	_ZL22rocblas_saxpy_2_kernelILi256Ef16rocblas_bfloat16PKPKS0_PKPS0_EviT1_lT2_llT3_lli ; -- Begin function _ZL22rocblas_saxpy_2_kernelILi256Ef16rocblas_bfloat16PKPKS0_PKPS0_EviT1_lT2_llT3_lli
	.p2align	8
	.type	_ZL22rocblas_saxpy_2_kernelILi256Ef16rocblas_bfloat16PKPKS0_PKPS0_EviT1_lT2_llT3_lli,@function
_ZL22rocblas_saxpy_2_kernelILi256Ef16rocblas_bfloat16PKPKS0_PKPS0_EviT1_lT2_llT3_lli: ; @_ZL22rocblas_saxpy_2_kernelILi256Ef16rocblas_bfloat16PKPKS0_PKPS0_EviT1_lT2_llT3_lli
; %bb.0:
	s_load_b64 s[2:3], s[0:1], 0x0
	s_mov_b32 s5, 0
	s_waitcnt lgkmcnt(0)
	v_and_b32_e64 v1, 0x7fff, s3
	s_delay_alu instid0(VALU_DEP_1)
	v_cmp_eq_u16_e32 vcc_lo, 0, v1
	s_cbranch_vccnz .LBB165_29
; %bb.1:
	s_clause 0x1
	s_load_b128 s[8:11], s[0:1], 0x10
	s_load_b128 s[16:19], s[0:1], 0x28
	s_mov_b32 s4, s15
	s_and_b32 s3, s3, 0xffff
	s_lshl_b64 s[0:1], s[4:5], 3
	v_dual_mov_b32 v3, 0 :: v_dual_lshlrev_b32 v0, 1, v0
	s_delay_alu instid0(VALU_DEP_1) | instskip(NEXT) | instid1(VALU_DEP_1)
	v_lshl_or_b32 v2, s14, 9, v0
	v_lshlrev_b64 v[0:1], 1, v[2:3]
	s_waitcnt lgkmcnt(0)
	s_add_u32 s4, s8, s0
	s_addc_u32 s5, s9, s1
	s_lshl_b64 s[6:7], s[10:11], 1
	s_load_b64 s[4:5], s[4:5], 0x0
	s_mov_b32 s8, exec_lo
	s_waitcnt lgkmcnt(0)
	s_add_u32 s4, s4, s6
	s_addc_u32 s5, s5, s7
	s_add_u32 s0, s16, s0
	s_addc_u32 s1, s17, s1
	s_lshl_b64 s[6:7], s[18:19], 1
	s_load_b64 s[0:1], s[0:1], 0x0
	s_waitcnt lgkmcnt(0)
	s_add_u32 s6, s0, s6
	s_addc_u32 s7, s1, s7
	s_add_i32 s0, s2, -1
	s_delay_alu instid0(SALU_CYCLE_1) | instskip(NEXT) | instid1(SALU_CYCLE_1)
	s_ashr_i32 s1, s0, 31
	v_cmpx_gt_i64_e64 s[0:1], v[2:3]
	s_cbranch_execz .LBB165_19
; %bb.2:
	v_add_co_u32 v6, vcc_lo, s4, v0
	v_add_co_ci_u32_e32 v7, vcc_lo, s5, v1, vcc_lo
	v_add_co_u32 v4, vcc_lo, s6, v0
	v_add_co_ci_u32_e32 v5, vcc_lo, s7, v1, vcc_lo
	global_load_u16 v9, v[6:7], off
	s_lshl_b32 s9, s3, 16
	global_load_u16 v8, v[4:5], off
	s_waitcnt vmcnt(1)
	v_lshlrev_b32_e32 v9, 16, v9
	s_delay_alu instid0(VALU_DEP_1) | instskip(NEXT) | instid1(VALU_DEP_1)
	v_mul_f32_e32 v9, s9, v9
	v_and_b32_e32 v10, 0x7f800000, v9
	s_delay_alu instid0(VALU_DEP_1) | instskip(SKIP_1) | instid1(SALU_CYCLE_1)
	v_cmp_ne_u32_e32 vcc_lo, 0x7f800000, v10
                                        ; implicit-def: $vgpr10
	s_and_saveexec_b32 s10, vcc_lo
	s_xor_b32 s10, exec_lo, s10
; %bb.3:
	v_bfe_u32 v10, v9, 16, 1
	s_delay_alu instid0(VALU_DEP_1)
	v_add3_u32 v10, v9, v10, 0x7fff
                                        ; implicit-def: $vgpr9
; %bb.4:
	s_and_not1_saveexec_b32 s10, s10
; %bb.5:
	v_and_b32_e32 v10, 0xffff, v9
	v_or_b32_e32 v11, 0x10000, v9
	s_delay_alu instid0(VALU_DEP_2) | instskip(NEXT) | instid1(VALU_DEP_2)
	v_cmp_eq_u32_e32 vcc_lo, 0, v10
	v_cndmask_b32_e32 v10, v11, v9, vcc_lo
; %bb.6:
	s_or_b32 exec_lo, exec_lo, s10
	s_delay_alu instid0(VALU_DEP_1) | instskip(SKIP_2) | instid1(VALU_DEP_1)
	v_and_b32_e32 v9, 0xffff0000, v10
	s_waitcnt vmcnt(0)
	v_lshlrev_b32_e32 v8, 16, v8
	v_add_f32_e32 v8, v8, v9
	s_delay_alu instid0(VALU_DEP_1) | instskip(NEXT) | instid1(VALU_DEP_1)
	v_and_b32_e32 v9, 0x7f800000, v8
	v_cmp_ne_u32_e32 vcc_lo, 0x7f800000, v9
                                        ; implicit-def: $vgpr9
	s_and_saveexec_b32 s10, vcc_lo
	s_delay_alu instid0(SALU_CYCLE_1)
	s_xor_b32 s10, exec_lo, s10
; %bb.7:
	v_bfe_u32 v9, v8, 16, 1
	s_delay_alu instid0(VALU_DEP_1)
	v_add3_u32 v9, v8, v9, 0x7fff
                                        ; implicit-def: $vgpr8
; %bb.8:
	s_and_not1_saveexec_b32 s10, s10
; %bb.9:
	v_and_b32_e32 v9, 0xffff, v8
	v_or_b32_e32 v10, 0x10000, v8
	s_delay_alu instid0(VALU_DEP_2) | instskip(NEXT) | instid1(VALU_DEP_2)
	v_cmp_eq_u32_e32 vcc_lo, 0, v9
	v_cndmask_b32_e32 v9, v10, v8, vcc_lo
; %bb.10:
	s_or_b32 exec_lo, exec_lo, s10
	global_store_d16_hi_b16 v[4:5], v9, off
	global_load_u16 v7, v[6:7], off offset:2
	global_load_u16 v6, v[4:5], off offset:2
	s_waitcnt vmcnt(1)
	v_lshlrev_b32_e32 v7, 16, v7
	s_delay_alu instid0(VALU_DEP_1) | instskip(NEXT) | instid1(VALU_DEP_1)
	v_mul_f32_e32 v7, s9, v7
	v_and_b32_e32 v8, 0x7f800000, v7
	s_delay_alu instid0(VALU_DEP_1) | instskip(SKIP_1) | instid1(SALU_CYCLE_1)
	v_cmp_ne_u32_e32 vcc_lo, 0x7f800000, v8
                                        ; implicit-def: $vgpr8
	s_and_saveexec_b32 s9, vcc_lo
	s_xor_b32 s9, exec_lo, s9
; %bb.11:
	v_bfe_u32 v8, v7, 16, 1
	s_delay_alu instid0(VALU_DEP_1)
	v_add3_u32 v8, v7, v8, 0x7fff
                                        ; implicit-def: $vgpr7
; %bb.12:
	s_and_not1_saveexec_b32 s9, s9
; %bb.13:
	v_and_b32_e32 v8, 0xffff, v7
	v_or_b32_e32 v9, 0x10000, v7
	s_delay_alu instid0(VALU_DEP_2) | instskip(NEXT) | instid1(VALU_DEP_2)
	v_cmp_eq_u32_e32 vcc_lo, 0, v8
	v_cndmask_b32_e32 v8, v9, v7, vcc_lo
; %bb.14:
	s_or_b32 exec_lo, exec_lo, s9
	s_delay_alu instid0(VALU_DEP_1) | instskip(SKIP_2) | instid1(VALU_DEP_1)
	v_and_b32_e32 v7, 0xffff0000, v8
	s_waitcnt vmcnt(0)
	v_lshlrev_b32_e32 v6, 16, v6
	v_add_f32_e32 v6, v6, v7
	s_delay_alu instid0(VALU_DEP_1) | instskip(NEXT) | instid1(VALU_DEP_1)
	v_and_b32_e32 v7, 0x7f800000, v6
	v_cmp_ne_u32_e32 vcc_lo, 0x7f800000, v7
                                        ; implicit-def: $vgpr7
	s_and_saveexec_b32 s9, vcc_lo
	s_delay_alu instid0(SALU_CYCLE_1)
	s_xor_b32 s9, exec_lo, s9
; %bb.15:
	v_bfe_u32 v7, v6, 16, 1
	s_delay_alu instid0(VALU_DEP_1)
	v_add3_u32 v7, v6, v7, 0x7fff
                                        ; implicit-def: $vgpr6
; %bb.16:
	s_and_not1_saveexec_b32 s9, s9
; %bb.17:
	v_and_b32_e32 v7, 0xffff, v6
	v_or_b32_e32 v8, 0x10000, v6
	s_delay_alu instid0(VALU_DEP_2) | instskip(NEXT) | instid1(VALU_DEP_2)
	v_cmp_eq_u32_e32 vcc_lo, 0, v7
	v_cndmask_b32_e32 v7, v8, v6, vcc_lo
; %bb.18:
	s_or_b32 exec_lo, exec_lo, s9
	global_store_d16_hi_b16 v[4:5], v7, off offset:2
.LBB165_19:
	s_or_b32 exec_lo, exec_lo, s8
	v_cmp_eq_u64_e32 vcc_lo, s[0:1], v[2:3]
	s_bitcmp1_b32 s2, 0
	s_cselect_b32 s0, -1, 0
	s_delay_alu instid0(SALU_CYCLE_1) | instskip(NEXT) | instid1(SALU_CYCLE_1)
	s_and_b32 s0, s0, vcc_lo
	s_and_saveexec_b32 s1, s0
	s_cbranch_execz .LBB165_29
; %bb.20:
	v_add_co_u32 v2, vcc_lo, s4, v0
	v_add_co_ci_u32_e32 v3, vcc_lo, s5, v1, vcc_lo
	v_add_co_u32 v0, vcc_lo, s6, v0
	v_add_co_ci_u32_e32 v1, vcc_lo, s7, v1, vcc_lo
	global_load_u16 v3, v[2:3], off
	s_lshl_b32 s0, s3, 16
	global_load_u16 v2, v[0:1], off
	s_waitcnt vmcnt(1)
	v_lshlrev_b32_e32 v3, 16, v3
	s_delay_alu instid0(VALU_DEP_1) | instskip(NEXT) | instid1(VALU_DEP_1)
	v_mul_f32_e32 v3, s0, v3
	v_and_b32_e32 v4, 0x7f800000, v3
	s_delay_alu instid0(VALU_DEP_1) | instskip(SKIP_1) | instid1(SALU_CYCLE_1)
	v_cmp_ne_u32_e32 vcc_lo, 0x7f800000, v4
                                        ; implicit-def: $vgpr4
	s_and_saveexec_b32 s0, vcc_lo
	s_xor_b32 s0, exec_lo, s0
; %bb.21:
	v_bfe_u32 v4, v3, 16, 1
	s_delay_alu instid0(VALU_DEP_1)
	v_add3_u32 v4, v3, v4, 0x7fff
                                        ; implicit-def: $vgpr3
; %bb.22:
	s_and_not1_saveexec_b32 s0, s0
; %bb.23:
	v_and_b32_e32 v4, 0xffff, v3
	v_or_b32_e32 v5, 0x10000, v3
	s_delay_alu instid0(VALU_DEP_2) | instskip(NEXT) | instid1(VALU_DEP_2)
	v_cmp_eq_u32_e32 vcc_lo, 0, v4
	v_cndmask_b32_e32 v4, v5, v3, vcc_lo
; %bb.24:
	s_or_b32 exec_lo, exec_lo, s0
	s_delay_alu instid0(VALU_DEP_1) | instskip(SKIP_2) | instid1(VALU_DEP_1)
	v_and_b32_e32 v3, 0xffff0000, v4
	s_waitcnt vmcnt(0)
	v_lshlrev_b32_e32 v2, 16, v2
	v_add_f32_e32 v2, v2, v3
	s_delay_alu instid0(VALU_DEP_1) | instskip(NEXT) | instid1(VALU_DEP_1)
	v_and_b32_e32 v3, 0x7f800000, v2
	v_cmp_ne_u32_e32 vcc_lo, 0x7f800000, v3
                                        ; implicit-def: $vgpr3
	s_and_saveexec_b32 s0, vcc_lo
	s_delay_alu instid0(SALU_CYCLE_1)
	s_xor_b32 s0, exec_lo, s0
; %bb.25:
	v_bfe_u32 v3, v2, 16, 1
	s_delay_alu instid0(VALU_DEP_1)
	v_add3_u32 v3, v2, v3, 0x7fff
                                        ; implicit-def: $vgpr2
; %bb.26:
	s_and_not1_saveexec_b32 s0, s0
; %bb.27:
	v_and_b32_e32 v3, 0xffff, v2
	v_or_b32_e32 v4, 0x10000, v2
	s_delay_alu instid0(VALU_DEP_2) | instskip(NEXT) | instid1(VALU_DEP_2)
	v_cmp_eq_u32_e32 vcc_lo, 0, v3
	v_cndmask_b32_e32 v3, v4, v2, vcc_lo
; %bb.28:
	s_or_b32 exec_lo, exec_lo, s0
	global_store_d16_hi_b16 v[0:1], v3, off
.LBB165_29:
	s_nop 0
	s_sendmsg sendmsg(MSG_DEALLOC_VGPRS)
	s_endpgm
	.section	.rodata,"a",@progbits
	.p2align	6, 0x0
	.amdhsa_kernel _ZL22rocblas_saxpy_2_kernelILi256Ef16rocblas_bfloat16PKPKS0_PKPS0_EviT1_lT2_llT3_lli
		.amdhsa_group_segment_fixed_size 0
		.amdhsa_private_segment_fixed_size 0
		.amdhsa_kernarg_size 68
		.amdhsa_user_sgpr_count 14
		.amdhsa_user_sgpr_dispatch_ptr 0
		.amdhsa_user_sgpr_queue_ptr 0
		.amdhsa_user_sgpr_kernarg_segment_ptr 1
		.amdhsa_user_sgpr_dispatch_id 0
		.amdhsa_user_sgpr_private_segment_size 0
		.amdhsa_wavefront_size32 1
		.amdhsa_uses_dynamic_stack 0
		.amdhsa_enable_private_segment 0
		.amdhsa_system_sgpr_workgroup_id_x 1
		.amdhsa_system_sgpr_workgroup_id_y 0
		.amdhsa_system_sgpr_workgroup_id_z 1
		.amdhsa_system_sgpr_workgroup_info 0
		.amdhsa_system_vgpr_workitem_id 0
		.amdhsa_next_free_vgpr 12
		.amdhsa_next_free_sgpr 20
		.amdhsa_reserve_vcc 1
		.amdhsa_float_round_mode_32 0
		.amdhsa_float_round_mode_16_64 0
		.amdhsa_float_denorm_mode_32 3
		.amdhsa_float_denorm_mode_16_64 3
		.amdhsa_dx10_clamp 1
		.amdhsa_ieee_mode 1
		.amdhsa_fp16_overflow 0
		.amdhsa_workgroup_processor_mode 1
		.amdhsa_memory_ordered 1
		.amdhsa_forward_progress 0
		.amdhsa_shared_vgpr_count 0
		.amdhsa_exception_fp_ieee_invalid_op 0
		.amdhsa_exception_fp_denorm_src 0
		.amdhsa_exception_fp_ieee_div_zero 0
		.amdhsa_exception_fp_ieee_overflow 0
		.amdhsa_exception_fp_ieee_underflow 0
		.amdhsa_exception_fp_ieee_inexact 0
		.amdhsa_exception_int_div_zero 0
	.end_amdhsa_kernel
	.section	.text._ZL22rocblas_saxpy_2_kernelILi256Ef16rocblas_bfloat16PKPKS0_PKPS0_EviT1_lT2_llT3_lli,"axG",@progbits,_ZL22rocblas_saxpy_2_kernelILi256Ef16rocblas_bfloat16PKPKS0_PKPS0_EviT1_lT2_llT3_lli,comdat
.Lfunc_end165:
	.size	_ZL22rocblas_saxpy_2_kernelILi256Ef16rocblas_bfloat16PKPKS0_PKPS0_EviT1_lT2_llT3_lli, .Lfunc_end165-_ZL22rocblas_saxpy_2_kernelILi256Ef16rocblas_bfloat16PKPKS0_PKPS0_EviT1_lT2_llT3_lli
                                        ; -- End function
	.section	.AMDGPU.csdata,"",@progbits
; Kernel info:
; codeLenInByte = 1032
; NumSgprs: 22
; NumVgprs: 12
; ScratchSize: 0
; MemoryBound: 0
; FloatMode: 240
; IeeeMode: 1
; LDSByteSize: 0 bytes/workgroup (compile time only)
; SGPRBlocks: 2
; VGPRBlocks: 1
; NumSGPRsForWavesPerEU: 22
; NumVGPRsForWavesPerEU: 12
; Occupancy: 16
; WaveLimiterHint : 1
; COMPUTE_PGM_RSRC2:SCRATCH_EN: 0
; COMPUTE_PGM_RSRC2:USER_SGPR: 14
; COMPUTE_PGM_RSRC2:TRAP_HANDLER: 0
; COMPUTE_PGM_RSRC2:TGID_X_EN: 1
; COMPUTE_PGM_RSRC2:TGID_Y_EN: 0
; COMPUTE_PGM_RSRC2:TGID_Z_EN: 1
; COMPUTE_PGM_RSRC2:TIDIG_COMP_CNT: 0
	.section	.text._ZL27rocblas_axpy_kernel_batchedIiLi128ELi8EfPK16rocblas_bfloat16PKS2_PKPS0_EviT3_lT4_lT_lT5_lSA_li,"axG",@progbits,_ZL27rocblas_axpy_kernel_batchedIiLi128ELi8EfPK16rocblas_bfloat16PKS2_PKPS0_EviT3_lT4_lT_lT5_lSA_li,comdat
	.globl	_ZL27rocblas_axpy_kernel_batchedIiLi128ELi8EfPK16rocblas_bfloat16PKS2_PKPS0_EviT3_lT4_lT_lT5_lSA_li ; -- Begin function _ZL27rocblas_axpy_kernel_batchedIiLi128ELi8EfPK16rocblas_bfloat16PKS2_PKPS0_EviT3_lT4_lT_lT5_lSA_li
	.p2align	8
	.type	_ZL27rocblas_axpy_kernel_batchedIiLi128ELi8EfPK16rocblas_bfloat16PKS2_PKPS0_EviT3_lT4_lT_lT5_lSA_li,@function
_ZL27rocblas_axpy_kernel_batchedIiLi128ELi8EfPK16rocblas_bfloat16PKS2_PKPS0_EviT3_lT4_lT_lT5_lSA_li: ; @_ZL27rocblas_axpy_kernel_batchedIiLi128ELi8EfPK16rocblas_bfloat16PKS2_PKPS0_EviT3_lT4_lT_lT5_lSA_li
; %bb.0:
	s_load_b32 s2, s[0:1], 0x0
	v_dual_mov_b32 v6, 0 :: v_dual_and_b32 v1, 0x3ff, v0
	s_delay_alu instid0(VALU_DEP_1)
	v_lshl_add_u32 v5, s14, 7, v1
	s_waitcnt lgkmcnt(0)
	s_ashr_i32 s3, s2, 31
	s_delay_alu instid0(VALU_DEP_1) | instid1(SALU_CYCLE_1)
	v_cmp_gt_i64_e32 vcc_lo, s[2:3], v[5:6]
	s_and_saveexec_b32 s2, vcc_lo
	s_cbranch_execz .LBB166_45
; %bb.1:
	s_clause 0x3
	s_load_b32 s13, s[0:1], 0x28
	s_load_b32 s14, s[0:1], 0x48
	s_load_b128 s[8:11], s[0:1], 0x38
	s_load_b32 s12, s[0:1], 0x58
	v_bfe_u32 v0, v0, 10, 10
	s_load_b256 s[0:7], s[0:1], 0x8
	s_waitcnt lgkmcnt(0)
	v_mad_u64_u32 v[3:4], null, s13, v5, 0
	v_mad_u64_u32 v[1:2], null, s14, v5, 0
	v_lshlrev_b32_e32 v9, 2, v0
	s_ashr_i32 s13, s13, 31
	s_ashr_i32 s14, s14, 31
	s_delay_alu instid0(VALU_DEP_3) | instskip(NEXT) | instid1(VALU_DEP_1)
	v_mov_b32_e32 v0, v4
	v_mad_u64_u32 v[6:7], null, s13, v5, v[0:1]
	s_delay_alu instid0(VALU_DEP_4) | instskip(SKIP_2) | instid1(VALU_DEP_3)
	v_mad_u64_u32 v[7:8], null, s14, v5, v[2:3]
	v_lshl_add_u32 v5, s15, 5, v9
	s_mov_b32 s13, exec_lo
	v_mov_b32_e32 v4, v6
	s_delay_alu instid0(VALU_DEP_3) | instskip(NEXT) | instid1(VALU_DEP_3)
	v_mov_b32_e32 v2, v7
	v_cmpx_gt_u32_e64 s12, v5
	s_cbranch_execz .LBB166_12
; %bb.2:
	v_mad_u64_u32 v[6:7], null, v5, s2, 0
	s_delay_alu instid0(VALU_DEP_1) | instskip(NEXT) | instid1(VALU_DEP_1)
	v_mov_b32_e32 v0, v7
	v_mad_u64_u32 v[7:8], null, v5, s3, v[0:1]
	s_delay_alu instid0(VALU_DEP_1) | instskip(NEXT) | instid1(VALU_DEP_1)
	v_lshlrev_b64 v[6:7], 1, v[6:7]
	v_add_co_u32 v6, vcc_lo, s0, v6
	s_delay_alu instid0(VALU_DEP_2) | instskip(SKIP_3) | instid1(VALU_DEP_1)
	v_add_co_ci_u32_e32 v7, vcc_lo, s1, v7, vcc_lo
	global_load_u16 v0, v[6:7], off
	s_waitcnt vmcnt(0)
	v_and_b32_e32 v6, 0x7fff, v0
	v_cmp_ne_u16_e32 vcc_lo, 0, v6
	s_and_b32 exec_lo, exec_lo, vcc_lo
	s_cbranch_execz .LBB166_12
; %bb.3:
	v_mov_b32_e32 v6, 0
	v_lshlrev_b64 v[10:11], 1, v[3:4]
	s_lshl_b64 s[14:15], s[6:7], 1
	v_lshlrev_b32_e32 v0, 16, v0
	s_delay_alu instid0(VALU_DEP_3) | instskip(NEXT) | instid1(VALU_DEP_1)
	v_lshlrev_b64 v[6:7], 3, v[5:6]
	v_add_co_u32 v8, vcc_lo, s4, v6
	s_delay_alu instid0(VALU_DEP_2)
	v_add_co_ci_u32_e32 v9, vcc_lo, s5, v7, vcc_lo
	v_add_co_u32 v6, vcc_lo, s8, v6
	v_add_co_ci_u32_e32 v7, vcc_lo, s9, v7, vcc_lo
	global_load_b64 v[8:9], v[8:9], off
	global_load_b64 v[6:7], v[6:7], off
	s_waitcnt vmcnt(1)
	v_add_co_u32 v8, vcc_lo, v8, v10
	v_add_co_ci_u32_e32 v9, vcc_lo, v9, v11, vcc_lo
	s_delay_alu instid0(VALU_DEP_2) | instskip(NEXT) | instid1(VALU_DEP_2)
	v_add_co_u32 v8, vcc_lo, v8, s14
	v_add_co_ci_u32_e32 v9, vcc_lo, s15, v9, vcc_lo
	s_lshl_b64 s[14:15], s[10:11], 1
	global_load_u16 v10, v[8:9], off
	v_lshlrev_b64 v[8:9], 1, v[1:2]
	s_waitcnt vmcnt(1)
	s_delay_alu instid0(VALU_DEP_1) | instskip(NEXT) | instid1(VALU_DEP_2)
	v_add_co_u32 v6, vcc_lo, v6, v8
	v_add_co_ci_u32_e32 v7, vcc_lo, v7, v9, vcc_lo
	s_delay_alu instid0(VALU_DEP_2) | instskip(NEXT) | instid1(VALU_DEP_2)
	v_add_co_u32 v6, vcc_lo, v6, s14
	v_add_co_ci_u32_e32 v7, vcc_lo, s15, v7, vcc_lo
	global_load_u16 v8, v[6:7], off
	s_waitcnt vmcnt(1)
	v_lshlrev_b32_e32 v9, 16, v10
	s_delay_alu instid0(VALU_DEP_1) | instskip(NEXT) | instid1(VALU_DEP_1)
	v_mul_f32_e32 v0, v0, v9
	v_and_b32_e32 v9, 0x7f800000, v0
	s_delay_alu instid0(VALU_DEP_1) | instskip(SKIP_1) | instid1(SALU_CYCLE_1)
	v_cmp_ne_u32_e32 vcc_lo, 0x7f800000, v9
                                        ; implicit-def: $vgpr9
	s_and_saveexec_b32 s14, vcc_lo
	s_xor_b32 s14, exec_lo, s14
; %bb.4:
	v_bfe_u32 v9, v0, 16, 1
	s_delay_alu instid0(VALU_DEP_1)
	v_add3_u32 v9, v0, v9, 0x7fff
                                        ; implicit-def: $vgpr0
; %bb.5:
	s_and_not1_saveexec_b32 s14, s14
; %bb.6:
	v_and_b32_e32 v9, 0xffff, v0
	v_or_b32_e32 v10, 0x10000, v0
	s_delay_alu instid0(VALU_DEP_2) | instskip(NEXT) | instid1(VALU_DEP_2)
	v_cmp_eq_u32_e32 vcc_lo, 0, v9
	v_cndmask_b32_e32 v9, v10, v0, vcc_lo
; %bb.7:
	s_or_b32 exec_lo, exec_lo, s14
	s_delay_alu instid0(VALU_DEP_1) | instskip(SKIP_2) | instid1(VALU_DEP_1)
	v_and_b32_e32 v0, 0xffff0000, v9
	s_waitcnt vmcnt(0)
	v_lshlrev_b32_e32 v8, 16, v8
	v_add_f32_e32 v0, v8, v0
	s_delay_alu instid0(VALU_DEP_1) | instskip(NEXT) | instid1(VALU_DEP_1)
	v_and_b32_e32 v8, 0x7f800000, v0
	v_cmp_ne_u32_e32 vcc_lo, 0x7f800000, v8
                                        ; implicit-def: $vgpr8
	s_and_saveexec_b32 s14, vcc_lo
	s_delay_alu instid0(SALU_CYCLE_1)
	s_xor_b32 s14, exec_lo, s14
; %bb.8:
	v_bfe_u32 v8, v0, 16, 1
	s_delay_alu instid0(VALU_DEP_1)
	v_add3_u32 v8, v0, v8, 0x7fff
                                        ; implicit-def: $vgpr0
; %bb.9:
	s_and_not1_saveexec_b32 s14, s14
; %bb.10:
	v_and_b32_e32 v8, 0xffff, v0
	v_or_b32_e32 v9, 0x10000, v0
	s_delay_alu instid0(VALU_DEP_2) | instskip(NEXT) | instid1(VALU_DEP_2)
	v_cmp_eq_u32_e32 vcc_lo, 0, v8
	v_cndmask_b32_e32 v8, v9, v0, vcc_lo
; %bb.11:
	s_or_b32 exec_lo, exec_lo, s14
	global_store_d16_hi_b16 v[6:7], v8, off
.LBB166_12:
	s_or_b32 exec_lo, exec_lo, s13
	v_or_b32_e32 v0, 1, v5
	s_mov_b32 s13, exec_lo
	s_delay_alu instid0(VALU_DEP_1)
	v_cmpx_gt_u32_e64 s12, v0
	s_cbranch_execz .LBB166_23
; %bb.13:
	v_mad_u64_u32 v[6:7], null, v0, s2, 0
	s_delay_alu instid0(VALU_DEP_1) | instskip(NEXT) | instid1(VALU_DEP_1)
	v_mad_u64_u32 v[8:9], null, v0, s3, v[7:8]
	v_mov_b32_e32 v7, v8
	s_delay_alu instid0(VALU_DEP_1) | instskip(NEXT) | instid1(VALU_DEP_1)
	v_lshlrev_b64 v[6:7], 1, v[6:7]
	v_add_co_u32 v6, vcc_lo, s0, v6
	s_delay_alu instid0(VALU_DEP_2) | instskip(SKIP_3) | instid1(VALU_DEP_1)
	v_add_co_ci_u32_e32 v7, vcc_lo, s1, v7, vcc_lo
	global_load_u16 v0, v[6:7], off
	s_waitcnt vmcnt(0)
	v_and_b32_e32 v6, 0x7fff, v0
	v_cmp_ne_u16_e32 vcc_lo, 0, v6
	s_and_b32 exec_lo, exec_lo, vcc_lo
	s_cbranch_execz .LBB166_23
; %bb.14:
	v_mov_b32_e32 v6, 0
	v_lshlrev_b64 v[10:11], 1, v[3:4]
	s_lshl_b64 s[14:15], s[6:7], 1
	v_lshlrev_b32_e32 v0, 16, v0
	s_delay_alu instid0(VALU_DEP_3) | instskip(NEXT) | instid1(VALU_DEP_1)
	v_lshlrev_b64 v[6:7], 3, v[5:6]
	v_add_co_u32 v8, vcc_lo, s4, v6
	s_delay_alu instid0(VALU_DEP_2)
	v_add_co_ci_u32_e32 v9, vcc_lo, s5, v7, vcc_lo
	v_add_co_u32 v6, vcc_lo, s8, v6
	v_add_co_ci_u32_e32 v7, vcc_lo, s9, v7, vcc_lo
	global_load_b64 v[8:9], v[8:9], off offset:8
	global_load_b64 v[6:7], v[6:7], off offset:8
	s_waitcnt vmcnt(1)
	v_add_co_u32 v8, vcc_lo, v8, v10
	v_add_co_ci_u32_e32 v9, vcc_lo, v9, v11, vcc_lo
	s_delay_alu instid0(VALU_DEP_2) | instskip(NEXT) | instid1(VALU_DEP_2)
	v_add_co_u32 v8, vcc_lo, v8, s14
	v_add_co_ci_u32_e32 v9, vcc_lo, s15, v9, vcc_lo
	s_lshl_b64 s[14:15], s[10:11], 1
	global_load_u16 v10, v[8:9], off
	v_lshlrev_b64 v[8:9], 1, v[1:2]
	s_waitcnt vmcnt(1)
	s_delay_alu instid0(VALU_DEP_1) | instskip(NEXT) | instid1(VALU_DEP_2)
	v_add_co_u32 v6, vcc_lo, v6, v8
	v_add_co_ci_u32_e32 v7, vcc_lo, v7, v9, vcc_lo
	s_delay_alu instid0(VALU_DEP_2) | instskip(NEXT) | instid1(VALU_DEP_2)
	v_add_co_u32 v6, vcc_lo, v6, s14
	v_add_co_ci_u32_e32 v7, vcc_lo, s15, v7, vcc_lo
	global_load_u16 v8, v[6:7], off
	s_waitcnt vmcnt(1)
	v_lshlrev_b32_e32 v9, 16, v10
	s_delay_alu instid0(VALU_DEP_1) | instskip(NEXT) | instid1(VALU_DEP_1)
	v_mul_f32_e32 v0, v0, v9
	v_and_b32_e32 v9, 0x7f800000, v0
	s_delay_alu instid0(VALU_DEP_1) | instskip(SKIP_1) | instid1(SALU_CYCLE_1)
	v_cmp_ne_u32_e32 vcc_lo, 0x7f800000, v9
                                        ; implicit-def: $vgpr9
	s_and_saveexec_b32 s14, vcc_lo
	s_xor_b32 s14, exec_lo, s14
; %bb.15:
	v_bfe_u32 v9, v0, 16, 1
	s_delay_alu instid0(VALU_DEP_1)
	v_add3_u32 v9, v0, v9, 0x7fff
                                        ; implicit-def: $vgpr0
; %bb.16:
	s_and_not1_saveexec_b32 s14, s14
; %bb.17:
	v_and_b32_e32 v9, 0xffff, v0
	v_or_b32_e32 v10, 0x10000, v0
	s_delay_alu instid0(VALU_DEP_2) | instskip(NEXT) | instid1(VALU_DEP_2)
	v_cmp_eq_u32_e32 vcc_lo, 0, v9
	v_cndmask_b32_e32 v9, v10, v0, vcc_lo
; %bb.18:
	s_or_b32 exec_lo, exec_lo, s14
	s_delay_alu instid0(VALU_DEP_1) | instskip(SKIP_2) | instid1(VALU_DEP_1)
	v_and_b32_e32 v0, 0xffff0000, v9
	s_waitcnt vmcnt(0)
	v_lshlrev_b32_e32 v8, 16, v8
	v_add_f32_e32 v0, v8, v0
	s_delay_alu instid0(VALU_DEP_1) | instskip(NEXT) | instid1(VALU_DEP_1)
	v_and_b32_e32 v8, 0x7f800000, v0
	v_cmp_ne_u32_e32 vcc_lo, 0x7f800000, v8
                                        ; implicit-def: $vgpr8
	s_and_saveexec_b32 s14, vcc_lo
	s_delay_alu instid0(SALU_CYCLE_1)
	s_xor_b32 s14, exec_lo, s14
; %bb.19:
	v_bfe_u32 v8, v0, 16, 1
	s_delay_alu instid0(VALU_DEP_1)
	v_add3_u32 v8, v0, v8, 0x7fff
                                        ; implicit-def: $vgpr0
; %bb.20:
	s_and_not1_saveexec_b32 s14, s14
; %bb.21:
	v_and_b32_e32 v8, 0xffff, v0
	v_or_b32_e32 v9, 0x10000, v0
	s_delay_alu instid0(VALU_DEP_2) | instskip(NEXT) | instid1(VALU_DEP_2)
	v_cmp_eq_u32_e32 vcc_lo, 0, v8
	v_cndmask_b32_e32 v8, v9, v0, vcc_lo
; %bb.22:
	s_or_b32 exec_lo, exec_lo, s14
	global_store_d16_hi_b16 v[6:7], v8, off
.LBB166_23:
	s_or_b32 exec_lo, exec_lo, s13
	v_or_b32_e32 v0, 2, v5
	s_mov_b32 s13, exec_lo
	s_delay_alu instid0(VALU_DEP_1)
	v_cmpx_gt_u32_e64 s12, v0
	s_cbranch_execz .LBB166_34
; %bb.24:
	v_mad_u64_u32 v[6:7], null, v0, s2, 0
	s_delay_alu instid0(VALU_DEP_1) | instskip(NEXT) | instid1(VALU_DEP_1)
	v_mad_u64_u32 v[8:9], null, v0, s3, v[7:8]
	v_mov_b32_e32 v7, v8
	s_delay_alu instid0(VALU_DEP_1) | instskip(NEXT) | instid1(VALU_DEP_1)
	v_lshlrev_b64 v[6:7], 1, v[6:7]
	v_add_co_u32 v6, vcc_lo, s0, v6
	s_delay_alu instid0(VALU_DEP_2) | instskip(SKIP_3) | instid1(VALU_DEP_1)
	v_add_co_ci_u32_e32 v7, vcc_lo, s1, v7, vcc_lo
	global_load_u16 v0, v[6:7], off
	s_waitcnt vmcnt(0)
	v_and_b32_e32 v6, 0x7fff, v0
	v_cmp_ne_u16_e32 vcc_lo, 0, v6
	s_and_b32 exec_lo, exec_lo, vcc_lo
	s_cbranch_execz .LBB166_34
; %bb.25:
	v_mov_b32_e32 v6, 0
	v_lshlrev_b64 v[10:11], 1, v[3:4]
	s_lshl_b64 s[14:15], s[6:7], 1
	v_lshlrev_b32_e32 v0, 16, v0
	s_delay_alu instid0(VALU_DEP_3) | instskip(NEXT) | instid1(VALU_DEP_1)
	v_lshlrev_b64 v[6:7], 3, v[5:6]
	v_add_co_u32 v8, vcc_lo, s4, v6
	s_delay_alu instid0(VALU_DEP_2)
	v_add_co_ci_u32_e32 v9, vcc_lo, s5, v7, vcc_lo
	v_add_co_u32 v6, vcc_lo, s8, v6
	v_add_co_ci_u32_e32 v7, vcc_lo, s9, v7, vcc_lo
	global_load_b64 v[8:9], v[8:9], off offset:16
	global_load_b64 v[6:7], v[6:7], off offset:16
	s_waitcnt vmcnt(1)
	v_add_co_u32 v8, vcc_lo, v8, v10
	v_add_co_ci_u32_e32 v9, vcc_lo, v9, v11, vcc_lo
	s_delay_alu instid0(VALU_DEP_2) | instskip(NEXT) | instid1(VALU_DEP_2)
	v_add_co_u32 v8, vcc_lo, v8, s14
	v_add_co_ci_u32_e32 v9, vcc_lo, s15, v9, vcc_lo
	s_lshl_b64 s[14:15], s[10:11], 1
	global_load_u16 v10, v[8:9], off
	v_lshlrev_b64 v[8:9], 1, v[1:2]
	s_waitcnt vmcnt(1)
	s_delay_alu instid0(VALU_DEP_1) | instskip(NEXT) | instid1(VALU_DEP_2)
	v_add_co_u32 v6, vcc_lo, v6, v8
	v_add_co_ci_u32_e32 v7, vcc_lo, v7, v9, vcc_lo
	s_delay_alu instid0(VALU_DEP_2) | instskip(NEXT) | instid1(VALU_DEP_2)
	v_add_co_u32 v6, vcc_lo, v6, s14
	v_add_co_ci_u32_e32 v7, vcc_lo, s15, v7, vcc_lo
	global_load_u16 v8, v[6:7], off
	s_waitcnt vmcnt(1)
	v_lshlrev_b32_e32 v9, 16, v10
	s_delay_alu instid0(VALU_DEP_1) | instskip(NEXT) | instid1(VALU_DEP_1)
	v_mul_f32_e32 v0, v0, v9
	v_and_b32_e32 v9, 0x7f800000, v0
	s_delay_alu instid0(VALU_DEP_1) | instskip(SKIP_1) | instid1(SALU_CYCLE_1)
	v_cmp_ne_u32_e32 vcc_lo, 0x7f800000, v9
                                        ; implicit-def: $vgpr9
	s_and_saveexec_b32 s14, vcc_lo
	s_xor_b32 s14, exec_lo, s14
; %bb.26:
	v_bfe_u32 v9, v0, 16, 1
	s_delay_alu instid0(VALU_DEP_1)
	v_add3_u32 v9, v0, v9, 0x7fff
                                        ; implicit-def: $vgpr0
; %bb.27:
	s_and_not1_saveexec_b32 s14, s14
; %bb.28:
	v_and_b32_e32 v9, 0xffff, v0
	v_or_b32_e32 v10, 0x10000, v0
	s_delay_alu instid0(VALU_DEP_2) | instskip(NEXT) | instid1(VALU_DEP_2)
	v_cmp_eq_u32_e32 vcc_lo, 0, v9
	v_cndmask_b32_e32 v9, v10, v0, vcc_lo
; %bb.29:
	s_or_b32 exec_lo, exec_lo, s14
	s_delay_alu instid0(VALU_DEP_1) | instskip(SKIP_2) | instid1(VALU_DEP_1)
	v_and_b32_e32 v0, 0xffff0000, v9
	s_waitcnt vmcnt(0)
	v_lshlrev_b32_e32 v8, 16, v8
	v_add_f32_e32 v0, v8, v0
	s_delay_alu instid0(VALU_DEP_1) | instskip(NEXT) | instid1(VALU_DEP_1)
	v_and_b32_e32 v8, 0x7f800000, v0
	v_cmp_ne_u32_e32 vcc_lo, 0x7f800000, v8
                                        ; implicit-def: $vgpr8
	s_and_saveexec_b32 s14, vcc_lo
	s_delay_alu instid0(SALU_CYCLE_1)
	s_xor_b32 s14, exec_lo, s14
; %bb.30:
	v_bfe_u32 v8, v0, 16, 1
	s_delay_alu instid0(VALU_DEP_1)
	v_add3_u32 v8, v0, v8, 0x7fff
                                        ; implicit-def: $vgpr0
; %bb.31:
	s_and_not1_saveexec_b32 s14, s14
; %bb.32:
	v_and_b32_e32 v8, 0xffff, v0
	v_or_b32_e32 v9, 0x10000, v0
	s_delay_alu instid0(VALU_DEP_2) | instskip(NEXT) | instid1(VALU_DEP_2)
	v_cmp_eq_u32_e32 vcc_lo, 0, v8
	v_cndmask_b32_e32 v8, v9, v0, vcc_lo
; %bb.33:
	s_or_b32 exec_lo, exec_lo, s14
	global_store_d16_hi_b16 v[6:7], v8, off
.LBB166_34:
	s_or_b32 exec_lo, exec_lo, s13
	v_or_b32_e32 v0, 3, v5
	s_delay_alu instid0(VALU_DEP_1)
	v_cmp_gt_u32_e32 vcc_lo, s12, v0
	s_and_b32 exec_lo, exec_lo, vcc_lo
	s_cbranch_execz .LBB166_45
; %bb.35:
	v_mad_u64_u32 v[6:7], null, v0, s2, 0
	s_delay_alu instid0(VALU_DEP_1) | instskip(NEXT) | instid1(VALU_DEP_1)
	v_mad_u64_u32 v[8:9], null, v0, s3, v[7:8]
	v_mov_b32_e32 v7, v8
	s_delay_alu instid0(VALU_DEP_1) | instskip(NEXT) | instid1(VALU_DEP_1)
	v_lshlrev_b64 v[6:7], 1, v[6:7]
	v_add_co_u32 v6, vcc_lo, s0, v6
	s_delay_alu instid0(VALU_DEP_2) | instskip(SKIP_3) | instid1(VALU_DEP_1)
	v_add_co_ci_u32_e32 v7, vcc_lo, s1, v7, vcc_lo
	global_load_u16 v7, v[6:7], off
	s_waitcnt vmcnt(0)
	v_and_b32_e32 v0, 0x7fff, v7
	v_cmp_ne_u16_e32 vcc_lo, 0, v0
	s_and_b32 exec_lo, exec_lo, vcc_lo
	s_cbranch_execz .LBB166_45
; %bb.36:
	v_mov_b32_e32 v6, 0
	v_lshlrev_b64 v[3:4], 1, v[3:4]
	s_lshl_b64 s[0:1], s[6:7], 1
	s_delay_alu instid0(VALU_DEP_2) | instskip(NEXT) | instid1(VALU_DEP_1)
	v_lshlrev_b64 v[5:6], 3, v[5:6]
	v_add_co_u32 v8, vcc_lo, s4, v5
	s_delay_alu instid0(VALU_DEP_2)
	v_add_co_ci_u32_e32 v9, vcc_lo, s5, v6, vcc_lo
	v_add_co_u32 v5, vcc_lo, s8, v5
	v_add_co_ci_u32_e32 v6, vcc_lo, s9, v6, vcc_lo
	global_load_b64 v[8:9], v[8:9], off offset:24
	global_load_b64 v[5:6], v[5:6], off offset:24
	s_waitcnt vmcnt(1)
	v_add_co_u32 v0, vcc_lo, v8, v3
	v_add_co_ci_u32_e32 v4, vcc_lo, v9, v4, vcc_lo
	s_delay_alu instid0(VALU_DEP_2) | instskip(NEXT) | instid1(VALU_DEP_2)
	v_add_co_u32 v3, vcc_lo, v0, s0
	v_add_co_ci_u32_e32 v4, vcc_lo, s1, v4, vcc_lo
	v_lshlrev_b64 v[0:1], 1, v[1:2]
	s_lshl_b64 s[0:1], s[10:11], 1
	global_load_u16 v3, v[3:4], off
	v_lshlrev_b32_e32 v4, 16, v7
	s_waitcnt vmcnt(1)
	v_add_co_u32 v0, vcc_lo, v5, v0
	v_add_co_ci_u32_e32 v1, vcc_lo, v6, v1, vcc_lo
	s_delay_alu instid0(VALU_DEP_2) | instskip(NEXT) | instid1(VALU_DEP_2)
	v_add_co_u32 v0, vcc_lo, v0, s0
	v_add_co_ci_u32_e32 v1, vcc_lo, s1, v1, vcc_lo
	global_load_u16 v2, v[0:1], off
	s_waitcnt vmcnt(1)
	v_lshlrev_b32_e32 v3, 16, v3
	s_delay_alu instid0(VALU_DEP_1) | instskip(NEXT) | instid1(VALU_DEP_1)
	v_mul_f32_e32 v3, v4, v3
	v_and_b32_e32 v4, 0x7f800000, v3
	s_delay_alu instid0(VALU_DEP_1) | instskip(SKIP_1) | instid1(SALU_CYCLE_1)
	v_cmp_ne_u32_e32 vcc_lo, 0x7f800000, v4
                                        ; implicit-def: $vgpr4
	s_and_saveexec_b32 s0, vcc_lo
	s_xor_b32 s0, exec_lo, s0
; %bb.37:
	v_bfe_u32 v4, v3, 16, 1
	s_delay_alu instid0(VALU_DEP_1)
	v_add3_u32 v4, v3, v4, 0x7fff
                                        ; implicit-def: $vgpr3
; %bb.38:
	s_and_not1_saveexec_b32 s0, s0
; %bb.39:
	v_and_b32_e32 v4, 0xffff, v3
	v_or_b32_e32 v5, 0x10000, v3
	s_delay_alu instid0(VALU_DEP_2) | instskip(NEXT) | instid1(VALU_DEP_2)
	v_cmp_eq_u32_e32 vcc_lo, 0, v4
	v_cndmask_b32_e32 v4, v5, v3, vcc_lo
; %bb.40:
	s_or_b32 exec_lo, exec_lo, s0
	s_delay_alu instid0(VALU_DEP_1) | instskip(SKIP_2) | instid1(VALU_DEP_1)
	v_and_b32_e32 v3, 0xffff0000, v4
	s_waitcnt vmcnt(0)
	v_lshlrev_b32_e32 v2, 16, v2
	v_add_f32_e32 v2, v2, v3
	s_delay_alu instid0(VALU_DEP_1) | instskip(NEXT) | instid1(VALU_DEP_1)
	v_and_b32_e32 v3, 0x7f800000, v2
	v_cmp_ne_u32_e32 vcc_lo, 0x7f800000, v3
                                        ; implicit-def: $vgpr3
	s_and_saveexec_b32 s0, vcc_lo
	s_delay_alu instid0(SALU_CYCLE_1)
	s_xor_b32 s0, exec_lo, s0
; %bb.41:
	v_bfe_u32 v3, v2, 16, 1
	s_delay_alu instid0(VALU_DEP_1)
	v_add3_u32 v3, v2, v3, 0x7fff
                                        ; implicit-def: $vgpr2
; %bb.42:
	s_and_not1_saveexec_b32 s0, s0
; %bb.43:
	v_and_b32_e32 v3, 0xffff, v2
	v_or_b32_e32 v4, 0x10000, v2
	s_delay_alu instid0(VALU_DEP_2) | instskip(NEXT) | instid1(VALU_DEP_2)
	v_cmp_eq_u32_e32 vcc_lo, 0, v3
	v_cndmask_b32_e32 v3, v4, v2, vcc_lo
; %bb.44:
	s_or_b32 exec_lo, exec_lo, s0
	global_store_d16_hi_b16 v[0:1], v3, off
.LBB166_45:
	s_nop 0
	s_sendmsg sendmsg(MSG_DEALLOC_VGPRS)
	s_endpgm
	.section	.rodata,"a",@progbits
	.p2align	6, 0x0
	.amdhsa_kernel _ZL27rocblas_axpy_kernel_batchedIiLi128ELi8EfPK16rocblas_bfloat16PKS2_PKPS0_EviT3_lT4_lT_lT5_lSA_li
		.amdhsa_group_segment_fixed_size 0
		.amdhsa_private_segment_fixed_size 0
		.amdhsa_kernarg_size 92
		.amdhsa_user_sgpr_count 14
		.amdhsa_user_sgpr_dispatch_ptr 0
		.amdhsa_user_sgpr_queue_ptr 0
		.amdhsa_user_sgpr_kernarg_segment_ptr 1
		.amdhsa_user_sgpr_dispatch_id 0
		.amdhsa_user_sgpr_private_segment_size 0
		.amdhsa_wavefront_size32 1
		.amdhsa_uses_dynamic_stack 0
		.amdhsa_enable_private_segment 0
		.amdhsa_system_sgpr_workgroup_id_x 1
		.amdhsa_system_sgpr_workgroup_id_y 0
		.amdhsa_system_sgpr_workgroup_id_z 1
		.amdhsa_system_sgpr_workgroup_info 0
		.amdhsa_system_vgpr_workitem_id 1
		.amdhsa_next_free_vgpr 12
		.amdhsa_next_free_sgpr 16
		.amdhsa_reserve_vcc 1
		.amdhsa_float_round_mode_32 0
		.amdhsa_float_round_mode_16_64 0
		.amdhsa_float_denorm_mode_32 3
		.amdhsa_float_denorm_mode_16_64 3
		.amdhsa_dx10_clamp 1
		.amdhsa_ieee_mode 1
		.amdhsa_fp16_overflow 0
		.amdhsa_workgroup_processor_mode 1
		.amdhsa_memory_ordered 1
		.amdhsa_forward_progress 0
		.amdhsa_shared_vgpr_count 0
		.amdhsa_exception_fp_ieee_invalid_op 0
		.amdhsa_exception_fp_denorm_src 0
		.amdhsa_exception_fp_ieee_div_zero 0
		.amdhsa_exception_fp_ieee_overflow 0
		.amdhsa_exception_fp_ieee_underflow 0
		.amdhsa_exception_fp_ieee_inexact 0
		.amdhsa_exception_int_div_zero 0
	.end_amdhsa_kernel
	.section	.text._ZL27rocblas_axpy_kernel_batchedIiLi128ELi8EfPK16rocblas_bfloat16PKS2_PKPS0_EviT3_lT4_lT_lT5_lSA_li,"axG",@progbits,_ZL27rocblas_axpy_kernel_batchedIiLi128ELi8EfPK16rocblas_bfloat16PKS2_PKPS0_EviT3_lT4_lT_lT5_lSA_li,comdat
.Lfunc_end166:
	.size	_ZL27rocblas_axpy_kernel_batchedIiLi128ELi8EfPK16rocblas_bfloat16PKS2_PKPS0_EviT3_lT4_lT_lT5_lSA_li, .Lfunc_end166-_ZL27rocblas_axpy_kernel_batchedIiLi128ELi8EfPK16rocblas_bfloat16PKS2_PKPS0_EviT3_lT4_lT_lT5_lSA_li
                                        ; -- End function
	.section	.AMDGPU.csdata,"",@progbits
; Kernel info:
; codeLenInByte = 2228
; NumSgprs: 18
; NumVgprs: 12
; ScratchSize: 0
; MemoryBound: 0
; FloatMode: 240
; IeeeMode: 1
; LDSByteSize: 0 bytes/workgroup (compile time only)
; SGPRBlocks: 2
; VGPRBlocks: 1
; NumSGPRsForWavesPerEU: 18
; NumVGPRsForWavesPerEU: 12
; Occupancy: 16
; WaveLimiterHint : 1
; COMPUTE_PGM_RSRC2:SCRATCH_EN: 0
; COMPUTE_PGM_RSRC2:USER_SGPR: 14
; COMPUTE_PGM_RSRC2:TRAP_HANDLER: 0
; COMPUTE_PGM_RSRC2:TGID_X_EN: 1
; COMPUTE_PGM_RSRC2:TGID_Y_EN: 0
; COMPUTE_PGM_RSRC2:TGID_Z_EN: 1
; COMPUTE_PGM_RSRC2:TIDIG_COMP_CNT: 1
	.section	.text._ZL27rocblas_axpy_kernel_batchedIiLi128ELi8Ef16rocblas_bfloat16PKPKS0_PKPS0_EviT3_lT4_lT_lT5_lSA_li,"axG",@progbits,_ZL27rocblas_axpy_kernel_batchedIiLi128ELi8Ef16rocblas_bfloat16PKPKS0_PKPS0_EviT3_lT4_lT_lT5_lSA_li,comdat
	.globl	_ZL27rocblas_axpy_kernel_batchedIiLi128ELi8Ef16rocblas_bfloat16PKPKS0_PKPS0_EviT3_lT4_lT_lT5_lSA_li ; -- Begin function _ZL27rocblas_axpy_kernel_batchedIiLi128ELi8Ef16rocblas_bfloat16PKPKS0_PKPS0_EviT3_lT4_lT_lT5_lSA_li
	.p2align	8
	.type	_ZL27rocblas_axpy_kernel_batchedIiLi128ELi8Ef16rocblas_bfloat16PKPKS0_PKPS0_EviT3_lT4_lT_lT5_lSA_li,@function
_ZL27rocblas_axpy_kernel_batchedIiLi128ELi8Ef16rocblas_bfloat16PKPKS0_PKPS0_EviT3_lT4_lT_lT5_lSA_li: ; @_ZL27rocblas_axpy_kernel_batchedIiLi128ELi8Ef16rocblas_bfloat16PKPKS0_PKPS0_EviT3_lT4_lT_lT5_lSA_li
; %bb.0:
	s_load_b64 s[2:3], s[0:1], 0x0
	v_dual_mov_b32 v2, 0 :: v_dual_and_b32 v1, 0x3ff, v0
	s_delay_alu instid0(VALU_DEP_1)
	v_lshl_add_u32 v1, s14, 7, v1
	s_waitcnt lgkmcnt(0)
	s_ashr_i32 s5, s2, 31
	s_mov_b32 s4, s2
	s_mov_b32 s2, exec_lo
	v_cmpx_gt_i64_e64 s[4:5], v[1:2]
	s_cbranch_execz .LBB167_41
; %bb.1:
	s_clause 0x2
	s_load_b32 s12, s[0:1], 0x20
	s_load_b32 s13, s[0:1], 0x40
	;; [unrolled: 1-line block ×3, first 2 shown]
	v_bfe_u32 v4, v0, 10, 10
	s_clause 0x1
	s_load_b128 s[8:11], s[0:1], 0x10
	s_load_b128 s[4:7], s[0:1], 0x30
	s_waitcnt lgkmcnt(0)
	v_mad_u64_u32 v[2:3], null, s12, v1, 0
	v_mad_u64_u32 v[5:6], null, s13, v1, 0
	s_ashr_i32 s0, s12, 31
	s_ashr_i32 s1, s13, 31
	s_delay_alu instid0(VALU_DEP_1) | instskip(NEXT) | instid1(VALU_DEP_1)
	v_dual_mov_b32 v0, v3 :: v_dual_mov_b32 v3, v6
	v_mad_u64_u32 v[6:7], null, s0, v1, v[0:1]
	s_delay_alu instid0(VALU_DEP_2) | instskip(SKIP_3) | instid1(VALU_DEP_4)
	v_mad_u64_u32 v[7:8], null, s1, v1, v[3:4]
	v_lshlrev_b32_e32 v0, 2, v4
	v_and_b32_e64 v1, 0x7fff, s3
	s_lshl_b32 s1, s3, 16
	v_mov_b32_e32 v3, v6
	s_delay_alu instid0(VALU_DEP_3) | instskip(SKIP_2) | instid1(VALU_DEP_4)
	v_lshl_add_u32 v4, s15, 5, v0
	v_mov_b32_e32 v6, v7
	v_cmp_ne_u16_e32 vcc_lo, 0, v1
	v_lshlrev_b64 v[2:3], 1, v[2:3]
	s_delay_alu instid0(VALU_DEP_4) | instskip(NEXT) | instid1(VALU_DEP_4)
	v_cmp_gt_u32_e64 s0, s2, v4
	v_lshlrev_b64 v[0:1], 1, v[5:6]
	s_delay_alu instid0(VALU_DEP_2) | instskip(NEXT) | instid1(SALU_CYCLE_1)
	s_and_b32 s0, s0, vcc_lo
	s_and_saveexec_b32 s3, s0
	s_cbranch_execz .LBB167_11
; %bb.2:
	v_mov_b32_e32 v5, 0
	s_lshl_b64 s[12:13], s[10:11], 1
	s_delay_alu instid0(VALU_DEP_1) | instskip(NEXT) | instid1(VALU_DEP_1)
	v_lshlrev_b64 v[5:6], 3, v[4:5]
	v_add_co_u32 v7, s0, s8, v5
	s_delay_alu instid0(VALU_DEP_1) | instskip(SKIP_1) | instid1(VALU_DEP_1)
	v_add_co_ci_u32_e64 v8, s0, s9, v6, s0
	v_add_co_u32 v5, s0, s4, v5
	v_add_co_ci_u32_e64 v6, s0, s5, v6, s0
	global_load_b64 v[7:8], v[7:8], off
	global_load_b64 v[5:6], v[5:6], off
	s_waitcnt vmcnt(1)
	v_add_co_u32 v7, s0, v7, v2
	s_delay_alu instid0(VALU_DEP_1) | instskip(NEXT) | instid1(VALU_DEP_2)
	v_add_co_ci_u32_e64 v8, s0, v8, v3, s0
	v_add_co_u32 v7, s0, v7, s12
	s_delay_alu instid0(VALU_DEP_1) | instskip(SKIP_2) | instid1(VALU_DEP_1)
	v_add_co_ci_u32_e64 v8, s0, s13, v8, s0
	s_waitcnt vmcnt(0)
	v_add_co_u32 v5, s0, v5, v0
	v_add_co_ci_u32_e64 v6, s0, v6, v1, s0
	global_load_u16 v8, v[7:8], off
	s_lshl_b64 s[12:13], s[6:7], 1
	s_delay_alu instid0(SALU_CYCLE_1) | instskip(NEXT) | instid1(VALU_DEP_1)
	v_add_co_u32 v5, s0, v5, s12
	v_add_co_ci_u32_e64 v6, s0, s13, v6, s0
	global_load_u16 v7, v[5:6], off
	s_waitcnt vmcnt(1)
	v_lshlrev_b32_e32 v8, 16, v8
	s_delay_alu instid0(VALU_DEP_1) | instskip(NEXT) | instid1(VALU_DEP_1)
	v_mul_f32_e32 v8, s1, v8
	v_and_b32_e32 v9, 0x7f800000, v8
	s_delay_alu instid0(VALU_DEP_1) | instskip(NEXT) | instid1(VALU_DEP_1)
	v_cmp_ne_u32_e64 s0, 0x7f800000, v9
                                        ; implicit-def: $vgpr9
	s_and_saveexec_b32 s12, s0
	s_delay_alu instid0(SALU_CYCLE_1)
	s_xor_b32 s0, exec_lo, s12
; %bb.3:
	v_bfe_u32 v9, v8, 16, 1
	s_delay_alu instid0(VALU_DEP_1)
	v_add3_u32 v9, v8, v9, 0x7fff
                                        ; implicit-def: $vgpr8
; %bb.4:
	s_and_not1_saveexec_b32 s12, s0
; %bb.5:
	v_and_b32_e32 v9, 0xffff, v8
	v_or_b32_e32 v10, 0x10000, v8
	s_delay_alu instid0(VALU_DEP_2) | instskip(NEXT) | instid1(VALU_DEP_1)
	v_cmp_eq_u32_e64 s0, 0, v9
	v_cndmask_b32_e64 v9, v10, v8, s0
; %bb.6:
	s_or_b32 exec_lo, exec_lo, s12
	s_delay_alu instid0(VALU_DEP_1) | instskip(SKIP_2) | instid1(VALU_DEP_1)
	v_and_b32_e32 v8, 0xffff0000, v9
	s_waitcnt vmcnt(0)
	v_lshlrev_b32_e32 v7, 16, v7
	v_add_f32_e32 v7, v7, v8
	s_delay_alu instid0(VALU_DEP_1) | instskip(NEXT) | instid1(VALU_DEP_1)
	v_and_b32_e32 v8, 0x7f800000, v7
	v_cmp_ne_u32_e64 s0, 0x7f800000, v8
                                        ; implicit-def: $vgpr8
	s_delay_alu instid0(VALU_DEP_1) | instskip(NEXT) | instid1(SALU_CYCLE_1)
	s_and_saveexec_b32 s12, s0
	s_xor_b32 s0, exec_lo, s12
; %bb.7:
	v_bfe_u32 v8, v7, 16, 1
	s_delay_alu instid0(VALU_DEP_1)
	v_add3_u32 v8, v7, v8, 0x7fff
                                        ; implicit-def: $vgpr7
; %bb.8:
	s_and_not1_saveexec_b32 s12, s0
; %bb.9:
	v_and_b32_e32 v8, 0xffff, v7
	v_or_b32_e32 v9, 0x10000, v7
	s_delay_alu instid0(VALU_DEP_2) | instskip(NEXT) | instid1(VALU_DEP_1)
	v_cmp_eq_u32_e64 s0, 0, v8
	v_cndmask_b32_e64 v8, v9, v7, s0
; %bb.10:
	s_or_b32 exec_lo, exec_lo, s12
	global_store_d16_hi_b16 v[5:6], v8, off
.LBB167_11:
	s_or_b32 exec_lo, exec_lo, s3
	v_or_b32_e32 v5, 1, v4
	s_delay_alu instid0(VALU_DEP_1) | instskip(NEXT) | instid1(VALU_DEP_1)
	v_cmp_gt_u32_e64 s0, s2, v5
	s_and_b32 s0, s0, vcc_lo
	s_delay_alu instid0(SALU_CYCLE_1)
	s_and_saveexec_b32 s3, s0
	s_cbranch_execz .LBB167_21
; %bb.12:
	v_mov_b32_e32 v5, 0
	s_lshl_b64 s[12:13], s[10:11], 1
	s_delay_alu instid0(VALU_DEP_1) | instskip(NEXT) | instid1(VALU_DEP_1)
	v_lshlrev_b64 v[5:6], 3, v[4:5]
	v_add_co_u32 v7, s0, s8, v5
	s_delay_alu instid0(VALU_DEP_1) | instskip(SKIP_1) | instid1(VALU_DEP_1)
	v_add_co_ci_u32_e64 v8, s0, s9, v6, s0
	v_add_co_u32 v5, s0, s4, v5
	v_add_co_ci_u32_e64 v6, s0, s5, v6, s0
	global_load_b64 v[7:8], v[7:8], off offset:8
	global_load_b64 v[5:6], v[5:6], off offset:8
	s_waitcnt vmcnt(1)
	v_add_co_u32 v7, s0, v7, v2
	s_delay_alu instid0(VALU_DEP_1) | instskip(NEXT) | instid1(VALU_DEP_2)
	v_add_co_ci_u32_e64 v8, s0, v8, v3, s0
	v_add_co_u32 v7, s0, v7, s12
	s_delay_alu instid0(VALU_DEP_1) | instskip(SKIP_2) | instid1(VALU_DEP_1)
	v_add_co_ci_u32_e64 v8, s0, s13, v8, s0
	s_waitcnt vmcnt(0)
	v_add_co_u32 v5, s0, v5, v0
	v_add_co_ci_u32_e64 v6, s0, v6, v1, s0
	global_load_u16 v8, v[7:8], off
	s_lshl_b64 s[12:13], s[6:7], 1
	s_delay_alu instid0(SALU_CYCLE_1) | instskip(NEXT) | instid1(VALU_DEP_1)
	v_add_co_u32 v5, s0, v5, s12
	v_add_co_ci_u32_e64 v6, s0, s13, v6, s0
	global_load_u16 v7, v[5:6], off
	s_waitcnt vmcnt(1)
	v_lshlrev_b32_e32 v8, 16, v8
	s_delay_alu instid0(VALU_DEP_1) | instskip(NEXT) | instid1(VALU_DEP_1)
	v_mul_f32_e32 v8, s1, v8
	v_and_b32_e32 v9, 0x7f800000, v8
	s_delay_alu instid0(VALU_DEP_1) | instskip(NEXT) | instid1(VALU_DEP_1)
	v_cmp_ne_u32_e64 s0, 0x7f800000, v9
                                        ; implicit-def: $vgpr9
	s_and_saveexec_b32 s12, s0
	s_delay_alu instid0(SALU_CYCLE_1)
	s_xor_b32 s0, exec_lo, s12
; %bb.13:
	v_bfe_u32 v9, v8, 16, 1
	s_delay_alu instid0(VALU_DEP_1)
	v_add3_u32 v9, v8, v9, 0x7fff
                                        ; implicit-def: $vgpr8
; %bb.14:
	s_and_not1_saveexec_b32 s12, s0
; %bb.15:
	v_and_b32_e32 v9, 0xffff, v8
	v_or_b32_e32 v10, 0x10000, v8
	s_delay_alu instid0(VALU_DEP_2) | instskip(NEXT) | instid1(VALU_DEP_1)
	v_cmp_eq_u32_e64 s0, 0, v9
	v_cndmask_b32_e64 v9, v10, v8, s0
; %bb.16:
	s_or_b32 exec_lo, exec_lo, s12
	s_delay_alu instid0(VALU_DEP_1) | instskip(SKIP_2) | instid1(VALU_DEP_1)
	v_and_b32_e32 v8, 0xffff0000, v9
	s_waitcnt vmcnt(0)
	v_lshlrev_b32_e32 v7, 16, v7
	v_add_f32_e32 v7, v7, v8
	s_delay_alu instid0(VALU_DEP_1) | instskip(NEXT) | instid1(VALU_DEP_1)
	v_and_b32_e32 v8, 0x7f800000, v7
	v_cmp_ne_u32_e64 s0, 0x7f800000, v8
                                        ; implicit-def: $vgpr8
	s_delay_alu instid0(VALU_DEP_1) | instskip(NEXT) | instid1(SALU_CYCLE_1)
	s_and_saveexec_b32 s12, s0
	s_xor_b32 s0, exec_lo, s12
; %bb.17:
	v_bfe_u32 v8, v7, 16, 1
	s_delay_alu instid0(VALU_DEP_1)
	v_add3_u32 v8, v7, v8, 0x7fff
                                        ; implicit-def: $vgpr7
; %bb.18:
	s_and_not1_saveexec_b32 s12, s0
; %bb.19:
	v_and_b32_e32 v8, 0xffff, v7
	v_or_b32_e32 v9, 0x10000, v7
	s_delay_alu instid0(VALU_DEP_2) | instskip(NEXT) | instid1(VALU_DEP_1)
	v_cmp_eq_u32_e64 s0, 0, v8
	v_cndmask_b32_e64 v8, v9, v7, s0
; %bb.20:
	s_or_b32 exec_lo, exec_lo, s12
	global_store_d16_hi_b16 v[5:6], v8, off
.LBB167_21:
	s_or_b32 exec_lo, exec_lo, s3
	v_or_b32_e32 v5, 2, v4
	s_delay_alu instid0(VALU_DEP_1) | instskip(NEXT) | instid1(VALU_DEP_1)
	v_cmp_gt_u32_e64 s0, s2, v5
	s_and_b32 s0, s0, vcc_lo
	s_delay_alu instid0(SALU_CYCLE_1)
	s_and_saveexec_b32 s3, s0
	s_cbranch_execz .LBB167_31
; %bb.22:
	v_mov_b32_e32 v5, 0
	s_lshl_b64 s[12:13], s[10:11], 1
	s_delay_alu instid0(VALU_DEP_1) | instskip(NEXT) | instid1(VALU_DEP_1)
	v_lshlrev_b64 v[5:6], 3, v[4:5]
	v_add_co_u32 v7, s0, s8, v5
	s_delay_alu instid0(VALU_DEP_1) | instskip(SKIP_1) | instid1(VALU_DEP_1)
	v_add_co_ci_u32_e64 v8, s0, s9, v6, s0
	v_add_co_u32 v5, s0, s4, v5
	v_add_co_ci_u32_e64 v6, s0, s5, v6, s0
	global_load_b64 v[7:8], v[7:8], off offset:16
	global_load_b64 v[5:6], v[5:6], off offset:16
	s_waitcnt vmcnt(1)
	v_add_co_u32 v7, s0, v7, v2
	s_delay_alu instid0(VALU_DEP_1) | instskip(NEXT) | instid1(VALU_DEP_2)
	v_add_co_ci_u32_e64 v8, s0, v8, v3, s0
	v_add_co_u32 v7, s0, v7, s12
	s_delay_alu instid0(VALU_DEP_1) | instskip(SKIP_2) | instid1(VALU_DEP_1)
	v_add_co_ci_u32_e64 v8, s0, s13, v8, s0
	s_waitcnt vmcnt(0)
	v_add_co_u32 v5, s0, v5, v0
	v_add_co_ci_u32_e64 v6, s0, v6, v1, s0
	global_load_u16 v8, v[7:8], off
	s_lshl_b64 s[12:13], s[6:7], 1
	s_delay_alu instid0(SALU_CYCLE_1) | instskip(NEXT) | instid1(VALU_DEP_1)
	v_add_co_u32 v5, s0, v5, s12
	v_add_co_ci_u32_e64 v6, s0, s13, v6, s0
	global_load_u16 v7, v[5:6], off
	s_waitcnt vmcnt(1)
	v_lshlrev_b32_e32 v8, 16, v8
	s_delay_alu instid0(VALU_DEP_1) | instskip(NEXT) | instid1(VALU_DEP_1)
	v_mul_f32_e32 v8, s1, v8
	v_and_b32_e32 v9, 0x7f800000, v8
	s_delay_alu instid0(VALU_DEP_1) | instskip(NEXT) | instid1(VALU_DEP_1)
	v_cmp_ne_u32_e64 s0, 0x7f800000, v9
                                        ; implicit-def: $vgpr9
	s_and_saveexec_b32 s12, s0
	s_delay_alu instid0(SALU_CYCLE_1)
	s_xor_b32 s0, exec_lo, s12
; %bb.23:
	v_bfe_u32 v9, v8, 16, 1
	s_delay_alu instid0(VALU_DEP_1)
	v_add3_u32 v9, v8, v9, 0x7fff
                                        ; implicit-def: $vgpr8
; %bb.24:
	s_and_not1_saveexec_b32 s12, s0
; %bb.25:
	v_and_b32_e32 v9, 0xffff, v8
	v_or_b32_e32 v10, 0x10000, v8
	s_delay_alu instid0(VALU_DEP_2) | instskip(NEXT) | instid1(VALU_DEP_1)
	v_cmp_eq_u32_e64 s0, 0, v9
	v_cndmask_b32_e64 v9, v10, v8, s0
; %bb.26:
	s_or_b32 exec_lo, exec_lo, s12
	s_delay_alu instid0(VALU_DEP_1) | instskip(SKIP_2) | instid1(VALU_DEP_1)
	v_and_b32_e32 v8, 0xffff0000, v9
	s_waitcnt vmcnt(0)
	v_lshlrev_b32_e32 v7, 16, v7
	v_add_f32_e32 v7, v7, v8
	s_delay_alu instid0(VALU_DEP_1) | instskip(NEXT) | instid1(VALU_DEP_1)
	v_and_b32_e32 v8, 0x7f800000, v7
	v_cmp_ne_u32_e64 s0, 0x7f800000, v8
                                        ; implicit-def: $vgpr8
	s_delay_alu instid0(VALU_DEP_1) | instskip(NEXT) | instid1(SALU_CYCLE_1)
	s_and_saveexec_b32 s12, s0
	s_xor_b32 s0, exec_lo, s12
; %bb.27:
	v_bfe_u32 v8, v7, 16, 1
	s_delay_alu instid0(VALU_DEP_1)
	v_add3_u32 v8, v7, v8, 0x7fff
                                        ; implicit-def: $vgpr7
; %bb.28:
	s_and_not1_saveexec_b32 s12, s0
; %bb.29:
	v_and_b32_e32 v8, 0xffff, v7
	v_or_b32_e32 v9, 0x10000, v7
	s_delay_alu instid0(VALU_DEP_2) | instskip(NEXT) | instid1(VALU_DEP_1)
	v_cmp_eq_u32_e64 s0, 0, v8
	v_cndmask_b32_e64 v8, v9, v7, s0
; %bb.30:
	s_or_b32 exec_lo, exec_lo, s12
	global_store_d16_hi_b16 v[5:6], v8, off
.LBB167_31:
	s_or_b32 exec_lo, exec_lo, s3
	v_or_b32_e32 v5, 3, v4
	s_delay_alu instid0(VALU_DEP_1) | instskip(NEXT) | instid1(VALU_DEP_1)
	v_cmp_gt_u32_e64 s0, s2, v5
	s_and_b32 s0, s0, vcc_lo
	s_delay_alu instid0(SALU_CYCLE_1)
	s_and_b32 exec_lo, exec_lo, s0
	s_cbranch_execz .LBB167_41
; %bb.32:
	v_mov_b32_e32 v5, 0
	s_lshl_b64 s[2:3], s[10:11], 1
	s_delay_alu instid0(VALU_DEP_1) | instskip(NEXT) | instid1(VALU_DEP_1)
	v_lshlrev_b64 v[4:5], 3, v[4:5]
	v_add_co_u32 v6, vcc_lo, s8, v4
	s_delay_alu instid0(VALU_DEP_2)
	v_add_co_ci_u32_e32 v7, vcc_lo, s9, v5, vcc_lo
	v_add_co_u32 v4, vcc_lo, s4, v4
	v_add_co_ci_u32_e32 v5, vcc_lo, s5, v5, vcc_lo
	global_load_b64 v[6:7], v[6:7], off offset:24
	global_load_b64 v[4:5], v[4:5], off offset:24
	s_waitcnt vmcnt(1)
	v_add_co_u32 v2, vcc_lo, v6, v2
	v_add_co_ci_u32_e32 v3, vcc_lo, v7, v3, vcc_lo
	s_delay_alu instid0(VALU_DEP_2) | instskip(NEXT) | instid1(VALU_DEP_2)
	v_add_co_u32 v2, vcc_lo, v2, s2
	v_add_co_ci_u32_e32 v3, vcc_lo, s3, v3, vcc_lo
	s_waitcnt vmcnt(0)
	v_add_co_u32 v0, vcc_lo, v4, v0
	v_add_co_ci_u32_e32 v1, vcc_lo, v5, v1, vcc_lo
	global_load_u16 v3, v[2:3], off
	s_lshl_b64 s[2:3], s[6:7], 1
	s_delay_alu instid0(SALU_CYCLE_1) | instskip(SKIP_4) | instid1(VALU_DEP_1)
	v_add_co_u32 v0, vcc_lo, v0, s2
	v_add_co_ci_u32_e32 v1, vcc_lo, s3, v1, vcc_lo
	global_load_u16 v2, v[0:1], off
	s_waitcnt vmcnt(1)
	v_lshlrev_b32_e32 v3, 16, v3
	v_mul_f32_e32 v3, s1, v3
	s_delay_alu instid0(VALU_DEP_1) | instskip(NEXT) | instid1(VALU_DEP_1)
	v_and_b32_e32 v4, 0x7f800000, v3
	v_cmp_ne_u32_e32 vcc_lo, 0x7f800000, v4
                                        ; implicit-def: $vgpr4
	s_and_saveexec_b32 s0, vcc_lo
	s_delay_alu instid0(SALU_CYCLE_1)
	s_xor_b32 s0, exec_lo, s0
; %bb.33:
	v_bfe_u32 v4, v3, 16, 1
	s_delay_alu instid0(VALU_DEP_1)
	v_add3_u32 v4, v3, v4, 0x7fff
                                        ; implicit-def: $vgpr3
; %bb.34:
	s_and_not1_saveexec_b32 s0, s0
; %bb.35:
	v_and_b32_e32 v4, 0xffff, v3
	v_or_b32_e32 v5, 0x10000, v3
	s_delay_alu instid0(VALU_DEP_2) | instskip(NEXT) | instid1(VALU_DEP_2)
	v_cmp_eq_u32_e32 vcc_lo, 0, v4
	v_cndmask_b32_e32 v4, v5, v3, vcc_lo
; %bb.36:
	s_or_b32 exec_lo, exec_lo, s0
	s_delay_alu instid0(VALU_DEP_1) | instskip(SKIP_2) | instid1(VALU_DEP_1)
	v_and_b32_e32 v3, 0xffff0000, v4
	s_waitcnt vmcnt(0)
	v_lshlrev_b32_e32 v2, 16, v2
	v_add_f32_e32 v2, v2, v3
	s_delay_alu instid0(VALU_DEP_1) | instskip(NEXT) | instid1(VALU_DEP_1)
	v_and_b32_e32 v3, 0x7f800000, v2
	v_cmp_ne_u32_e32 vcc_lo, 0x7f800000, v3
                                        ; implicit-def: $vgpr3
	s_and_saveexec_b32 s0, vcc_lo
	s_delay_alu instid0(SALU_CYCLE_1)
	s_xor_b32 s0, exec_lo, s0
; %bb.37:
	v_bfe_u32 v3, v2, 16, 1
	s_delay_alu instid0(VALU_DEP_1)
	v_add3_u32 v3, v2, v3, 0x7fff
                                        ; implicit-def: $vgpr2
; %bb.38:
	s_and_not1_saveexec_b32 s0, s0
; %bb.39:
	v_and_b32_e32 v3, 0xffff, v2
	v_or_b32_e32 v4, 0x10000, v2
	s_delay_alu instid0(VALU_DEP_2) | instskip(NEXT) | instid1(VALU_DEP_2)
	v_cmp_eq_u32_e32 vcc_lo, 0, v3
	v_cndmask_b32_e32 v3, v4, v2, vcc_lo
; %bb.40:
	s_or_b32 exec_lo, exec_lo, s0
	global_store_d16_hi_b16 v[0:1], v3, off
.LBB167_41:
	s_nop 0
	s_sendmsg sendmsg(MSG_DEALLOC_VGPRS)
	s_endpgm
	.section	.rodata,"a",@progbits
	.p2align	6, 0x0
	.amdhsa_kernel _ZL27rocblas_axpy_kernel_batchedIiLi128ELi8Ef16rocblas_bfloat16PKPKS0_PKPS0_EviT3_lT4_lT_lT5_lSA_li
		.amdhsa_group_segment_fixed_size 0
		.amdhsa_private_segment_fixed_size 0
		.amdhsa_kernarg_size 84
		.amdhsa_user_sgpr_count 14
		.amdhsa_user_sgpr_dispatch_ptr 0
		.amdhsa_user_sgpr_queue_ptr 0
		.amdhsa_user_sgpr_kernarg_segment_ptr 1
		.amdhsa_user_sgpr_dispatch_id 0
		.amdhsa_user_sgpr_private_segment_size 0
		.amdhsa_wavefront_size32 1
		.amdhsa_uses_dynamic_stack 0
		.amdhsa_enable_private_segment 0
		.amdhsa_system_sgpr_workgroup_id_x 1
		.amdhsa_system_sgpr_workgroup_id_y 0
		.amdhsa_system_sgpr_workgroup_id_z 1
		.amdhsa_system_sgpr_workgroup_info 0
		.amdhsa_system_vgpr_workitem_id 1
		.amdhsa_next_free_vgpr 11
		.amdhsa_next_free_sgpr 16
		.amdhsa_reserve_vcc 1
		.amdhsa_float_round_mode_32 0
		.amdhsa_float_round_mode_16_64 0
		.amdhsa_float_denorm_mode_32 3
		.amdhsa_float_denorm_mode_16_64 3
		.amdhsa_dx10_clamp 1
		.amdhsa_ieee_mode 1
		.amdhsa_fp16_overflow 0
		.amdhsa_workgroup_processor_mode 1
		.amdhsa_memory_ordered 1
		.amdhsa_forward_progress 0
		.amdhsa_shared_vgpr_count 0
		.amdhsa_exception_fp_ieee_invalid_op 0
		.amdhsa_exception_fp_denorm_src 0
		.amdhsa_exception_fp_ieee_div_zero 0
		.amdhsa_exception_fp_ieee_overflow 0
		.amdhsa_exception_fp_ieee_underflow 0
		.amdhsa_exception_fp_ieee_inexact 0
		.amdhsa_exception_int_div_zero 0
	.end_amdhsa_kernel
	.section	.text._ZL27rocblas_axpy_kernel_batchedIiLi128ELi8Ef16rocblas_bfloat16PKPKS0_PKPS0_EviT3_lT4_lT_lT5_lSA_li,"axG",@progbits,_ZL27rocblas_axpy_kernel_batchedIiLi128ELi8Ef16rocblas_bfloat16PKPKS0_PKPS0_EviT3_lT4_lT_lT5_lSA_li,comdat
.Lfunc_end167:
	.size	_ZL27rocblas_axpy_kernel_batchedIiLi128ELi8Ef16rocblas_bfloat16PKPKS0_PKPS0_EviT3_lT4_lT_lT5_lSA_li, .Lfunc_end167-_ZL27rocblas_axpy_kernel_batchedIiLi128ELi8Ef16rocblas_bfloat16PKPKS0_PKPS0_EviT3_lT4_lT_lT5_lSA_li
                                        ; -- End function
	.section	.AMDGPU.csdata,"",@progbits
; Kernel info:
; codeLenInByte = 2056
; NumSgprs: 18
; NumVgprs: 11
; ScratchSize: 0
; MemoryBound: 0
; FloatMode: 240
; IeeeMode: 1
; LDSByteSize: 0 bytes/workgroup (compile time only)
; SGPRBlocks: 2
; VGPRBlocks: 1
; NumSGPRsForWavesPerEU: 18
; NumVGPRsForWavesPerEU: 11
; Occupancy: 16
; WaveLimiterHint : 1
; COMPUTE_PGM_RSRC2:SCRATCH_EN: 0
; COMPUTE_PGM_RSRC2:USER_SGPR: 14
; COMPUTE_PGM_RSRC2:TRAP_HANDLER: 0
; COMPUTE_PGM_RSRC2:TGID_X_EN: 1
; COMPUTE_PGM_RSRC2:TGID_Y_EN: 0
; COMPUTE_PGM_RSRC2:TGID_Z_EN: 1
; COMPUTE_PGM_RSRC2:TIDIG_COMP_CNT: 1
	.section	.text._ZL19rocblas_axpy_kernelIiLi256EfPK16rocblas_bfloat16PKS2_PKPS0_EviT2_lT3_lT_lT4_lSA_li,"axG",@progbits,_ZL19rocblas_axpy_kernelIiLi256EfPK16rocblas_bfloat16PKS2_PKPS0_EviT2_lT3_lT_lT4_lSA_li,comdat
	.globl	_ZL19rocblas_axpy_kernelIiLi256EfPK16rocblas_bfloat16PKS2_PKPS0_EviT2_lT3_lT_lT4_lSA_li ; -- Begin function _ZL19rocblas_axpy_kernelIiLi256EfPK16rocblas_bfloat16PKS2_PKPS0_EviT2_lT3_lT_lT4_lSA_li
	.p2align	8
	.type	_ZL19rocblas_axpy_kernelIiLi256EfPK16rocblas_bfloat16PKS2_PKPS0_EviT2_lT3_lT_lT4_lSA_li,@function
_ZL19rocblas_axpy_kernelIiLi256EfPK16rocblas_bfloat16PKS2_PKPS0_EviT2_lT3_lT_lT4_lSA_li: ; @_ZL19rocblas_axpy_kernelIiLi256EfPK16rocblas_bfloat16PKS2_PKPS0_EviT2_lT3_lT_lT4_lSA_li
; %bb.0:
	s_clause 0x1
	s_load_b128 s[8:11], s[0:1], 0x8
	s_load_b32 s2, s[0:1], 0x0
	v_mov_b32_e32 v1, 0
	v_lshl_or_b32 v0, s14, 8, v0
	s_waitcnt lgkmcnt(0)
	s_mul_i32 s3, s15, s11
	s_mul_hi_u32 s5, s15, s10
	s_mul_i32 s6, s15, s10
	s_add_i32 s7, s5, s3
	s_ashr_i32 s3, s2, 31
	s_lshl_b64 s[6:7], s[6:7], 1
	v_cmp_gt_i64_e32 vcc_lo, s[2:3], v[0:1]
	s_add_u32 s6, s8, s6
	s_addc_u32 s7, s9, s7
	s_mov_b32 s5, 0
	global_load_u16 v2, v1, s[6:7]
	s_waitcnt vmcnt(0)
	v_and_b32_e32 v3, 0x7fff, v2
	s_delay_alu instid0(VALU_DEP_1) | instskip(NEXT) | instid1(VALU_DEP_1)
	v_cmp_ne_u16_e64 s2, 0, v3
	s_and_b32 s2, vcc_lo, s2
	s_delay_alu instid0(SALU_CYCLE_1)
	s_and_saveexec_b32 s3, s2
	s_cbranch_execz .LBB168_10
; %bb.1:
	s_clause 0x2
	s_load_b32 s2, s[0:1], 0x28
	s_load_b32 s12, s[0:1], 0x48
	s_load_b128 s[8:11], s[0:1], 0x18
	s_mov_b32 s4, s15
	s_delay_alu instid0(SALU_CYCLE_1)
	s_lshl_b64 s[4:5], s[4:5], 3
	s_waitcnt lgkmcnt(0)
	s_ashr_i32 s13, s2, 31
	s_ashr_i32 s14, s12, 31
	v_mad_u64_u32 v[3:4], null, s2, v0, 0
	s_add_u32 s2, s8, s4
	s_addc_u32 s3, s9, s5
	s_load_b64 s[6:7], s[2:3], 0x0
	s_load_b128 s[0:3], s[0:1], 0x38
	s_lshl_b64 s[8:9], s[10:11], 1
	s_delay_alu instid0(VALU_DEP_1) | instskip(NEXT) | instid1(VALU_DEP_1)
	v_mov_b32_e32 v1, v4
	v_mad_u64_u32 v[4:5], null, s13, v0, v[1:2]
	v_mad_u64_u32 v[5:6], null, s12, v0, 0
	s_delay_alu instid0(VALU_DEP_2) | instskip(NEXT) | instid1(VALU_DEP_2)
	v_lshlrev_b64 v[3:4], 1, v[3:4]
	v_mov_b32_e32 v1, v6
	s_waitcnt lgkmcnt(0)
	s_add_u32 s6, s8, s6
	s_addc_u32 s7, s9, s7
	s_add_u32 s0, s0, s4
	s_addc_u32 s1, s1, s5
	v_mad_u64_u32 v[6:7], null, s14, v0, v[1:2]
	s_load_b64 s[0:1], s[0:1], 0x0
	v_add_co_u32 v0, vcc_lo, s6, v3
	v_add_co_ci_u32_e32 v1, vcc_lo, s7, v4, vcc_lo
	s_lshl_b64 s[2:3], s[2:3], 1
	v_and_b32_e32 v2, 0xffff, v2
	global_load_u16 v4, v[0:1], off
	v_lshlrev_b64 v[0:1], 1, v[5:6]
	v_lshlrev_b32_e32 v2, 16, v2
	s_waitcnt lgkmcnt(0)
	s_add_u32 s0, s2, s0
	s_addc_u32 s1, s3, s1
	s_delay_alu instid0(VALU_DEP_2) | instskip(SKIP_4) | instid1(VALU_DEP_1)
	v_add_co_u32 v0, vcc_lo, s0, v0
	v_add_co_ci_u32_e32 v1, vcc_lo, s1, v1, vcc_lo
	global_load_u16 v3, v[0:1], off
	s_waitcnt vmcnt(1)
	v_lshlrev_b32_e32 v4, 16, v4
	v_mul_f32_e32 v2, v2, v4
	s_delay_alu instid0(VALU_DEP_1) | instskip(NEXT) | instid1(VALU_DEP_1)
	v_and_b32_e32 v4, 0x7f800000, v2
	v_cmp_ne_u32_e32 vcc_lo, 0x7f800000, v4
                                        ; implicit-def: $vgpr4
	s_and_saveexec_b32 s0, vcc_lo
	s_delay_alu instid0(SALU_CYCLE_1)
	s_xor_b32 s0, exec_lo, s0
; %bb.2:
	v_bfe_u32 v4, v2, 16, 1
	s_delay_alu instid0(VALU_DEP_1)
	v_add3_u32 v4, v2, v4, 0x7fff
                                        ; implicit-def: $vgpr2
; %bb.3:
	s_and_not1_saveexec_b32 s0, s0
; %bb.4:
	v_and_b32_e32 v4, 0xffff, v2
	v_or_b32_e32 v5, 0x10000, v2
	s_delay_alu instid0(VALU_DEP_2) | instskip(NEXT) | instid1(VALU_DEP_2)
	v_cmp_eq_u32_e32 vcc_lo, 0, v4
	v_cndmask_b32_e32 v4, v5, v2, vcc_lo
; %bb.5:
	s_or_b32 exec_lo, exec_lo, s0
	s_delay_alu instid0(VALU_DEP_1) | instskip(SKIP_2) | instid1(VALU_DEP_1)
	v_and_b32_e32 v2, 0xffff0000, v4
	s_waitcnt vmcnt(0)
	v_lshlrev_b32_e32 v3, 16, v3
	v_add_f32_e32 v2, v3, v2
	s_delay_alu instid0(VALU_DEP_1) | instskip(NEXT) | instid1(VALU_DEP_1)
	v_and_b32_e32 v3, 0x7f800000, v2
	v_cmp_ne_u32_e32 vcc_lo, 0x7f800000, v3
                                        ; implicit-def: $vgpr3
	s_and_saveexec_b32 s0, vcc_lo
	s_delay_alu instid0(SALU_CYCLE_1)
	s_xor_b32 s0, exec_lo, s0
; %bb.6:
	v_bfe_u32 v3, v2, 16, 1
	s_delay_alu instid0(VALU_DEP_1)
	v_add3_u32 v3, v2, v3, 0x7fff
                                        ; implicit-def: $vgpr2
; %bb.7:
	s_and_not1_saveexec_b32 s0, s0
; %bb.8:
	v_and_b32_e32 v3, 0xffff, v2
	v_or_b32_e32 v4, 0x10000, v2
	s_delay_alu instid0(VALU_DEP_2) | instskip(NEXT) | instid1(VALU_DEP_2)
	v_cmp_eq_u32_e32 vcc_lo, 0, v3
	v_cndmask_b32_e32 v3, v4, v2, vcc_lo
; %bb.9:
	s_or_b32 exec_lo, exec_lo, s0
	global_store_d16_hi_b16 v[0:1], v3, off
.LBB168_10:
	s_nop 0
	s_sendmsg sendmsg(MSG_DEALLOC_VGPRS)
	s_endpgm
	.section	.rodata,"a",@progbits
	.p2align	6, 0x0
	.amdhsa_kernel _ZL19rocblas_axpy_kernelIiLi256EfPK16rocblas_bfloat16PKS2_PKPS0_EviT2_lT3_lT_lT4_lSA_li
		.amdhsa_group_segment_fixed_size 0
		.amdhsa_private_segment_fixed_size 0
		.amdhsa_kernarg_size 92
		.amdhsa_user_sgpr_count 14
		.amdhsa_user_sgpr_dispatch_ptr 0
		.amdhsa_user_sgpr_queue_ptr 0
		.amdhsa_user_sgpr_kernarg_segment_ptr 1
		.amdhsa_user_sgpr_dispatch_id 0
		.amdhsa_user_sgpr_private_segment_size 0
		.amdhsa_wavefront_size32 1
		.amdhsa_uses_dynamic_stack 0
		.amdhsa_enable_private_segment 0
		.amdhsa_system_sgpr_workgroup_id_x 1
		.amdhsa_system_sgpr_workgroup_id_y 0
		.amdhsa_system_sgpr_workgroup_id_z 1
		.amdhsa_system_sgpr_workgroup_info 0
		.amdhsa_system_vgpr_workitem_id 0
		.amdhsa_next_free_vgpr 8
		.amdhsa_next_free_sgpr 16
		.amdhsa_reserve_vcc 1
		.amdhsa_float_round_mode_32 0
		.amdhsa_float_round_mode_16_64 0
		.amdhsa_float_denorm_mode_32 3
		.amdhsa_float_denorm_mode_16_64 3
		.amdhsa_dx10_clamp 1
		.amdhsa_ieee_mode 1
		.amdhsa_fp16_overflow 0
		.amdhsa_workgroup_processor_mode 1
		.amdhsa_memory_ordered 1
		.amdhsa_forward_progress 0
		.amdhsa_shared_vgpr_count 0
		.amdhsa_exception_fp_ieee_invalid_op 0
		.amdhsa_exception_fp_denorm_src 0
		.amdhsa_exception_fp_ieee_div_zero 0
		.amdhsa_exception_fp_ieee_overflow 0
		.amdhsa_exception_fp_ieee_underflow 0
		.amdhsa_exception_fp_ieee_inexact 0
		.amdhsa_exception_int_div_zero 0
	.end_amdhsa_kernel
	.section	.text._ZL19rocblas_axpy_kernelIiLi256EfPK16rocblas_bfloat16PKS2_PKPS0_EviT2_lT3_lT_lT4_lSA_li,"axG",@progbits,_ZL19rocblas_axpy_kernelIiLi256EfPK16rocblas_bfloat16PKS2_PKPS0_EviT2_lT3_lT_lT4_lSA_li,comdat
.Lfunc_end168:
	.size	_ZL19rocblas_axpy_kernelIiLi256EfPK16rocblas_bfloat16PKS2_PKPS0_EviT2_lT3_lT_lT4_lSA_li, .Lfunc_end168-_ZL19rocblas_axpy_kernelIiLi256EfPK16rocblas_bfloat16PKS2_PKPS0_EviT2_lT3_lT_lT4_lSA_li
                                        ; -- End function
	.section	.AMDGPU.csdata,"",@progbits
; Kernel info:
; codeLenInByte = 608
; NumSgprs: 18
; NumVgprs: 8
; ScratchSize: 0
; MemoryBound: 0
; FloatMode: 240
; IeeeMode: 1
; LDSByteSize: 0 bytes/workgroup (compile time only)
; SGPRBlocks: 2
; VGPRBlocks: 0
; NumSGPRsForWavesPerEU: 18
; NumVGPRsForWavesPerEU: 8
; Occupancy: 16
; WaveLimiterHint : 1
; COMPUTE_PGM_RSRC2:SCRATCH_EN: 0
; COMPUTE_PGM_RSRC2:USER_SGPR: 14
; COMPUTE_PGM_RSRC2:TRAP_HANDLER: 0
; COMPUTE_PGM_RSRC2:TGID_X_EN: 1
; COMPUTE_PGM_RSRC2:TGID_Y_EN: 0
; COMPUTE_PGM_RSRC2:TGID_Z_EN: 1
; COMPUTE_PGM_RSRC2:TIDIG_COMP_CNT: 0
	.section	.text._ZL19rocblas_axpy_kernelIiLi256Ef16rocblas_bfloat16PKPKS0_PKPS0_EviT2_lT3_lT_lT4_lSA_li,"axG",@progbits,_ZL19rocblas_axpy_kernelIiLi256Ef16rocblas_bfloat16PKPKS0_PKPS0_EviT2_lT3_lT_lT4_lSA_li,comdat
	.globl	_ZL19rocblas_axpy_kernelIiLi256Ef16rocblas_bfloat16PKPKS0_PKPS0_EviT2_lT3_lT_lT4_lSA_li ; -- Begin function _ZL19rocblas_axpy_kernelIiLi256Ef16rocblas_bfloat16PKPKS0_PKPS0_EviT2_lT3_lT_lT4_lSA_li
	.p2align	8
	.type	_ZL19rocblas_axpy_kernelIiLi256Ef16rocblas_bfloat16PKPKS0_PKPS0_EviT2_lT3_lT_lT4_lSA_li,@function
_ZL19rocblas_axpy_kernelIiLi256Ef16rocblas_bfloat16PKPKS0_PKPS0_EviT2_lT3_lT_lT4_lSA_li: ; @_ZL19rocblas_axpy_kernelIiLi256Ef16rocblas_bfloat16PKPKS0_PKPS0_EviT2_lT3_lT_lT4_lSA_li
; %bb.0:
	s_load_b64 s[2:3], s[0:1], 0x0
	v_lshl_or_b32 v0, s14, 8, v0
	v_mov_b32_e32 v1, 0
	s_mov_b32 s5, 0
	s_waitcnt lgkmcnt(0)
	v_and_b32_e64 v2, 0x7fff, s3
	s_ashr_i32 s7, s2, 31
	s_mov_b32 s6, s2
	s_delay_alu instid0(SALU_CYCLE_1) | instskip(NEXT) | instid1(VALU_DEP_2)
	v_cmp_gt_i64_e32 vcc_lo, s[6:7], v[0:1]
	v_cmp_ne_u16_e64 s2, 0, v2
	s_delay_alu instid0(VALU_DEP_1) | instskip(NEXT) | instid1(SALU_CYCLE_1)
	s_and_b32 s2, vcc_lo, s2
	s_and_saveexec_b32 s6, s2
	s_cbranch_execz .LBB169_10
; %bb.1:
	s_clause 0x2
	s_load_b32 s2, s[0:1], 0x20
	s_load_b32 s12, s[0:1], 0x40
	s_load_b128 s[8:11], s[0:1], 0x10
	s_mov_b32 s4, s15
	s_and_b32 s13, s3, 0xffff
	s_lshl_b64 s[4:5], s[4:5], 3
	s_waitcnt lgkmcnt(0)
	s_ashr_i32 s14, s2, 31
	s_ashr_i32 s15, s12, 31
	v_mad_u64_u32 v[1:2], null, s2, v0, 0
	s_add_u32 s2, s8, s4
	s_addc_u32 s3, s9, s5
	s_load_b64 s[6:7], s[2:3], 0x0
	s_load_b128 s[0:3], s[0:1], 0x30
	s_lshl_b64 s[8:9], s[10:11], 1
	s_delay_alu instid0(VALU_DEP_1) | instskip(SKIP_1) | instid1(VALU_DEP_1)
	v_mad_u64_u32 v[3:4], null, s14, v0, v[2:3]
	v_mad_u64_u32 v[4:5], null, s12, v0, 0
	v_dual_mov_b32 v2, v3 :: v_dual_mov_b32 v3, v5
	s_delay_alu instid0(VALU_DEP_1) | instskip(NEXT) | instid1(VALU_DEP_2)
	v_lshlrev_b64 v[1:2], 1, v[1:2]
	v_mad_u64_u32 v[5:6], null, s15, v0, v[3:4]
	s_waitcnt lgkmcnt(0)
	s_add_u32 s6, s8, s6
	s_addc_u32 s7, s9, s7
	s_add_u32 s0, s0, s4
	s_addc_u32 s1, s1, s5
	v_add_co_u32 v0, vcc_lo, s6, v1
	s_load_b64 s[0:1], s[0:1], 0x0
	v_add_co_ci_u32_e32 v1, vcc_lo, s7, v2, vcc_lo
	s_lshl_b64 s[2:3], s[2:3], 1
	global_load_u16 v3, v[0:1], off
	v_lshlrev_b64 v[0:1], 1, v[4:5]
	s_waitcnt lgkmcnt(0)
	s_add_u32 s0, s2, s0
	s_addc_u32 s1, s3, s1
	s_delay_alu instid0(VALU_DEP_1) | instskip(NEXT) | instid1(VALU_DEP_2)
	v_add_co_u32 v0, vcc_lo, s0, v0
	v_add_co_ci_u32_e32 v1, vcc_lo, s1, v1, vcc_lo
	s_lshl_b32 s0, s13, 16
	global_load_u16 v2, v[0:1], off
	s_waitcnt vmcnt(1)
	v_lshlrev_b32_e32 v3, 16, v3
	s_delay_alu instid0(VALU_DEP_1) | instskip(NEXT) | instid1(VALU_DEP_1)
	v_mul_f32_e32 v3, s0, v3
	v_and_b32_e32 v4, 0x7f800000, v3
	s_delay_alu instid0(VALU_DEP_1) | instskip(SKIP_1) | instid1(SALU_CYCLE_1)
	v_cmp_ne_u32_e32 vcc_lo, 0x7f800000, v4
                                        ; implicit-def: $vgpr4
	s_and_saveexec_b32 s0, vcc_lo
	s_xor_b32 s0, exec_lo, s0
; %bb.2:
	v_bfe_u32 v4, v3, 16, 1
	s_delay_alu instid0(VALU_DEP_1)
	v_add3_u32 v4, v3, v4, 0x7fff
                                        ; implicit-def: $vgpr3
; %bb.3:
	s_and_not1_saveexec_b32 s0, s0
; %bb.4:
	v_and_b32_e32 v4, 0xffff, v3
	v_or_b32_e32 v5, 0x10000, v3
	s_delay_alu instid0(VALU_DEP_2) | instskip(NEXT) | instid1(VALU_DEP_2)
	v_cmp_eq_u32_e32 vcc_lo, 0, v4
	v_cndmask_b32_e32 v4, v5, v3, vcc_lo
; %bb.5:
	s_or_b32 exec_lo, exec_lo, s0
	s_delay_alu instid0(VALU_DEP_1) | instskip(SKIP_2) | instid1(VALU_DEP_1)
	v_and_b32_e32 v3, 0xffff0000, v4
	s_waitcnt vmcnt(0)
	v_lshlrev_b32_e32 v2, 16, v2
	v_add_f32_e32 v2, v2, v3
	s_delay_alu instid0(VALU_DEP_1) | instskip(NEXT) | instid1(VALU_DEP_1)
	v_and_b32_e32 v3, 0x7f800000, v2
	v_cmp_ne_u32_e32 vcc_lo, 0x7f800000, v3
                                        ; implicit-def: $vgpr3
	s_and_saveexec_b32 s0, vcc_lo
	s_delay_alu instid0(SALU_CYCLE_1)
	s_xor_b32 s0, exec_lo, s0
; %bb.6:
	v_bfe_u32 v3, v2, 16, 1
	s_delay_alu instid0(VALU_DEP_1)
	v_add3_u32 v3, v2, v3, 0x7fff
                                        ; implicit-def: $vgpr2
; %bb.7:
	s_and_not1_saveexec_b32 s0, s0
; %bb.8:
	v_and_b32_e32 v3, 0xffff, v2
	v_or_b32_e32 v4, 0x10000, v2
	s_delay_alu instid0(VALU_DEP_2) | instskip(NEXT) | instid1(VALU_DEP_2)
	v_cmp_eq_u32_e32 vcc_lo, 0, v3
	v_cndmask_b32_e32 v3, v4, v2, vcc_lo
; %bb.9:
	s_or_b32 exec_lo, exec_lo, s0
	global_store_d16_hi_b16 v[0:1], v3, off
.LBB169_10:
	s_nop 0
	s_sendmsg sendmsg(MSG_DEALLOC_VGPRS)
	s_endpgm
	.section	.rodata,"a",@progbits
	.p2align	6, 0x0
	.amdhsa_kernel _ZL19rocblas_axpy_kernelIiLi256Ef16rocblas_bfloat16PKPKS0_PKPS0_EviT2_lT3_lT_lT4_lSA_li
		.amdhsa_group_segment_fixed_size 0
		.amdhsa_private_segment_fixed_size 0
		.amdhsa_kernarg_size 84
		.amdhsa_user_sgpr_count 14
		.amdhsa_user_sgpr_dispatch_ptr 0
		.amdhsa_user_sgpr_queue_ptr 0
		.amdhsa_user_sgpr_kernarg_segment_ptr 1
		.amdhsa_user_sgpr_dispatch_id 0
		.amdhsa_user_sgpr_private_segment_size 0
		.amdhsa_wavefront_size32 1
		.amdhsa_uses_dynamic_stack 0
		.amdhsa_enable_private_segment 0
		.amdhsa_system_sgpr_workgroup_id_x 1
		.amdhsa_system_sgpr_workgroup_id_y 0
		.amdhsa_system_sgpr_workgroup_id_z 1
		.amdhsa_system_sgpr_workgroup_info 0
		.amdhsa_system_vgpr_workitem_id 0
		.amdhsa_next_free_vgpr 7
		.amdhsa_next_free_sgpr 16
		.amdhsa_reserve_vcc 1
		.amdhsa_float_round_mode_32 0
		.amdhsa_float_round_mode_16_64 0
		.amdhsa_float_denorm_mode_32 3
		.amdhsa_float_denorm_mode_16_64 3
		.amdhsa_dx10_clamp 1
		.amdhsa_ieee_mode 1
		.amdhsa_fp16_overflow 0
		.amdhsa_workgroup_processor_mode 1
		.amdhsa_memory_ordered 1
		.amdhsa_forward_progress 0
		.amdhsa_shared_vgpr_count 0
		.amdhsa_exception_fp_ieee_invalid_op 0
		.amdhsa_exception_fp_denorm_src 0
		.amdhsa_exception_fp_ieee_div_zero 0
		.amdhsa_exception_fp_ieee_overflow 0
		.amdhsa_exception_fp_ieee_underflow 0
		.amdhsa_exception_fp_ieee_inexact 0
		.amdhsa_exception_int_div_zero 0
	.end_amdhsa_kernel
	.section	.text._ZL19rocblas_axpy_kernelIiLi256Ef16rocblas_bfloat16PKPKS0_PKPS0_EviT2_lT3_lT_lT4_lSA_li,"axG",@progbits,_ZL19rocblas_axpy_kernelIiLi256Ef16rocblas_bfloat16PKPKS0_PKPS0_EviT2_lT3_lT_lT4_lSA_li,comdat
.Lfunc_end169:
	.size	_ZL19rocblas_axpy_kernelIiLi256Ef16rocblas_bfloat16PKPKS0_PKPS0_EviT2_lT3_lT_lT4_lSA_li, .Lfunc_end169-_ZL19rocblas_axpy_kernelIiLi256Ef16rocblas_bfloat16PKPKS0_PKPS0_EviT2_lT3_lT_lT4_lSA_li
                                        ; -- End function
	.section	.AMDGPU.csdata,"",@progbits
; Kernel info:
; codeLenInByte = 560
; NumSgprs: 18
; NumVgprs: 7
; ScratchSize: 0
; MemoryBound: 0
; FloatMode: 240
; IeeeMode: 1
; LDSByteSize: 0 bytes/workgroup (compile time only)
; SGPRBlocks: 2
; VGPRBlocks: 0
; NumSGPRsForWavesPerEU: 18
; NumVGPRsForWavesPerEU: 7
; Occupancy: 16
; WaveLimiterHint : 1
; COMPUTE_PGM_RSRC2:SCRATCH_EN: 0
; COMPUTE_PGM_RSRC2:USER_SGPR: 14
; COMPUTE_PGM_RSRC2:TRAP_HANDLER: 0
; COMPUTE_PGM_RSRC2:TGID_X_EN: 1
; COMPUTE_PGM_RSRC2:TGID_Y_EN: 0
; COMPUTE_PGM_RSRC2:TGID_Z_EN: 1
; COMPUTE_PGM_RSRC2:TIDIG_COMP_CNT: 0
	.section	.text._ZL19rocblas_axpy_kernelIlLi256EfPK16rocblas_bfloat16PKS2_PKPS0_EviT2_lT3_lT_lT4_lSA_li,"axG",@progbits,_ZL19rocblas_axpy_kernelIlLi256EfPK16rocblas_bfloat16PKS2_PKPS0_EviT2_lT3_lT_lT4_lSA_li,comdat
	.globl	_ZL19rocblas_axpy_kernelIlLi256EfPK16rocblas_bfloat16PKS2_PKPS0_EviT2_lT3_lT_lT4_lSA_li ; -- Begin function _ZL19rocblas_axpy_kernelIlLi256EfPK16rocblas_bfloat16PKS2_PKPS0_EviT2_lT3_lT_lT4_lSA_li
	.p2align	8
	.type	_ZL19rocblas_axpy_kernelIlLi256EfPK16rocblas_bfloat16PKS2_PKPS0_EviT2_lT3_lT_lT4_lSA_li,@function
_ZL19rocblas_axpy_kernelIlLi256EfPK16rocblas_bfloat16PKS2_PKPS0_EviT2_lT3_lT_lT4_lSA_li: ; @_ZL19rocblas_axpy_kernelIlLi256EfPK16rocblas_bfloat16PKS2_PKPS0_EviT2_lT3_lT_lT4_lSA_li
; %bb.0:
	s_clause 0x1
	s_load_b128 s[4:7], s[0:1], 0x8
	s_load_b32 s2, s[0:1], 0x0
	v_mov_b32_e32 v1, 0
	v_lshl_or_b32 v0, s14, 8, v0
	s_mov_b32 s9, 0
	s_waitcnt lgkmcnt(0)
	s_mul_i32 s3, s15, s7
	s_mul_hi_u32 s7, s15, s6
	s_mul_i32 s6, s15, s6
	s_add_i32 s7, s7, s3
	s_ashr_i32 s3, s2, 31
	s_lshl_b64 s[6:7], s[6:7], 1
	v_cmp_gt_i64_e32 vcc_lo, s[2:3], v[0:1]
	s_add_u32 s4, s4, s6
	s_addc_u32 s5, s5, s7
	global_load_u16 v2, v1, s[4:5]
	s_waitcnt vmcnt(0)
	v_and_b32_e32 v3, 0x7fff, v2
	s_delay_alu instid0(VALU_DEP_1) | instskip(NEXT) | instid1(VALU_DEP_1)
	v_cmp_ne_u16_e64 s2, 0, v3
	s_and_b32 s2, vcc_lo, s2
	s_delay_alu instid0(SALU_CYCLE_1)
	s_and_saveexec_b32 s3, s2
	s_cbranch_execz .LBB170_10
; %bb.1:
	s_mov_b32 s8, s15
	s_clause 0x2
	s_load_b128 s[12:15], s[0:1], 0x20
	s_load_b64 s[2:3], s[0:1], 0x18
	s_load_b128 s[4:7], s[0:1], 0x40
	s_lshl_b64 s[8:9], s[8:9], 3
	s_waitcnt lgkmcnt(0)
	v_mad_u64_u32 v[3:4], null, v0, s14, 0
	s_add_u32 s2, s2, s8
	s_addc_u32 s3, s3, s9
	s_load_b64 s[2:3], s[2:3], 0x0
	s_load_b64 s[0:1], s[0:1], 0x38
	s_lshl_b64 s[10:11], s[12:13], 1
	s_delay_alu instid0(VALU_DEP_1) | instskip(NEXT) | instid1(VALU_DEP_1)
	v_mov_b32_e32 v1, v4
	v_mad_u64_u32 v[4:5], null, v0, s15, v[1:2]
	v_mad_u64_u32 v[5:6], null, v0, s6, 0
	s_delay_alu instid0(VALU_DEP_2) | instskip(NEXT) | instid1(VALU_DEP_2)
	v_lshlrev_b64 v[3:4], 1, v[3:4]
	v_mov_b32_e32 v1, v6
	s_waitcnt lgkmcnt(0)
	s_add_u32 s2, s10, s2
	s_addc_u32 s3, s11, s3
	s_add_u32 s0, s0, s8
	s_addc_u32 s1, s1, s9
	v_mad_u64_u32 v[6:7], null, v0, s7, v[1:2]
	s_load_b64 s[0:1], s[0:1], 0x0
	v_add_co_u32 v0, vcc_lo, s2, v3
	v_add_co_ci_u32_e32 v1, vcc_lo, s3, v4, vcc_lo
	s_lshl_b64 s[2:3], s[4:5], 1
	v_and_b32_e32 v2, 0xffff, v2
	global_load_u16 v4, v[0:1], off
	v_lshlrev_b64 v[0:1], 1, v[5:6]
	v_lshlrev_b32_e32 v2, 16, v2
	s_waitcnt lgkmcnt(0)
	s_add_u32 s0, s2, s0
	s_addc_u32 s1, s3, s1
	s_delay_alu instid0(VALU_DEP_2) | instskip(SKIP_4) | instid1(VALU_DEP_1)
	v_add_co_u32 v0, vcc_lo, s0, v0
	v_add_co_ci_u32_e32 v1, vcc_lo, s1, v1, vcc_lo
	global_load_u16 v3, v[0:1], off
	s_waitcnt vmcnt(1)
	v_lshlrev_b32_e32 v4, 16, v4
	v_mul_f32_e32 v2, v2, v4
	s_delay_alu instid0(VALU_DEP_1) | instskip(NEXT) | instid1(VALU_DEP_1)
	v_and_b32_e32 v4, 0x7f800000, v2
	v_cmp_ne_u32_e32 vcc_lo, 0x7f800000, v4
                                        ; implicit-def: $vgpr4
	s_and_saveexec_b32 s0, vcc_lo
	s_delay_alu instid0(SALU_CYCLE_1)
	s_xor_b32 s0, exec_lo, s0
; %bb.2:
	v_bfe_u32 v4, v2, 16, 1
	s_delay_alu instid0(VALU_DEP_1)
	v_add3_u32 v4, v2, v4, 0x7fff
                                        ; implicit-def: $vgpr2
; %bb.3:
	s_and_not1_saveexec_b32 s0, s0
; %bb.4:
	v_and_b32_e32 v4, 0xffff, v2
	v_or_b32_e32 v5, 0x10000, v2
	s_delay_alu instid0(VALU_DEP_2) | instskip(NEXT) | instid1(VALU_DEP_2)
	v_cmp_eq_u32_e32 vcc_lo, 0, v4
	v_cndmask_b32_e32 v4, v5, v2, vcc_lo
; %bb.5:
	s_or_b32 exec_lo, exec_lo, s0
	s_delay_alu instid0(VALU_DEP_1) | instskip(SKIP_2) | instid1(VALU_DEP_1)
	v_and_b32_e32 v2, 0xffff0000, v4
	s_waitcnt vmcnt(0)
	v_lshlrev_b32_e32 v3, 16, v3
	v_add_f32_e32 v2, v3, v2
	s_delay_alu instid0(VALU_DEP_1) | instskip(NEXT) | instid1(VALU_DEP_1)
	v_and_b32_e32 v3, 0x7f800000, v2
	v_cmp_ne_u32_e32 vcc_lo, 0x7f800000, v3
                                        ; implicit-def: $vgpr3
	s_and_saveexec_b32 s0, vcc_lo
	s_delay_alu instid0(SALU_CYCLE_1)
	s_xor_b32 s0, exec_lo, s0
; %bb.6:
	v_bfe_u32 v3, v2, 16, 1
	s_delay_alu instid0(VALU_DEP_1)
	v_add3_u32 v3, v2, v3, 0x7fff
                                        ; implicit-def: $vgpr2
; %bb.7:
	s_and_not1_saveexec_b32 s0, s0
; %bb.8:
	v_and_b32_e32 v3, 0xffff, v2
	v_or_b32_e32 v4, 0x10000, v2
	s_delay_alu instid0(VALU_DEP_2) | instskip(NEXT) | instid1(VALU_DEP_2)
	v_cmp_eq_u32_e32 vcc_lo, 0, v3
	v_cndmask_b32_e32 v3, v4, v2, vcc_lo
; %bb.9:
	s_or_b32 exec_lo, exec_lo, s0
	global_store_d16_hi_b16 v[0:1], v3, off
.LBB170_10:
	s_nop 0
	s_sendmsg sendmsg(MSG_DEALLOC_VGPRS)
	s_endpgm
	.section	.rodata,"a",@progbits
	.p2align	6, 0x0
	.amdhsa_kernel _ZL19rocblas_axpy_kernelIlLi256EfPK16rocblas_bfloat16PKS2_PKPS0_EviT2_lT3_lT_lT4_lSA_li
		.amdhsa_group_segment_fixed_size 0
		.amdhsa_private_segment_fixed_size 0
		.amdhsa_kernarg_size 92
		.amdhsa_user_sgpr_count 14
		.amdhsa_user_sgpr_dispatch_ptr 0
		.amdhsa_user_sgpr_queue_ptr 0
		.amdhsa_user_sgpr_kernarg_segment_ptr 1
		.amdhsa_user_sgpr_dispatch_id 0
		.amdhsa_user_sgpr_private_segment_size 0
		.amdhsa_wavefront_size32 1
		.amdhsa_uses_dynamic_stack 0
		.amdhsa_enable_private_segment 0
		.amdhsa_system_sgpr_workgroup_id_x 1
		.amdhsa_system_sgpr_workgroup_id_y 0
		.amdhsa_system_sgpr_workgroup_id_z 1
		.amdhsa_system_sgpr_workgroup_info 0
		.amdhsa_system_vgpr_workitem_id 0
		.amdhsa_next_free_vgpr 8
		.amdhsa_next_free_sgpr 16
		.amdhsa_reserve_vcc 1
		.amdhsa_float_round_mode_32 0
		.amdhsa_float_round_mode_16_64 0
		.amdhsa_float_denorm_mode_32 3
		.amdhsa_float_denorm_mode_16_64 3
		.amdhsa_dx10_clamp 1
		.amdhsa_ieee_mode 1
		.amdhsa_fp16_overflow 0
		.amdhsa_workgroup_processor_mode 1
		.amdhsa_memory_ordered 1
		.amdhsa_forward_progress 0
		.amdhsa_shared_vgpr_count 0
		.amdhsa_exception_fp_ieee_invalid_op 0
		.amdhsa_exception_fp_denorm_src 0
		.amdhsa_exception_fp_ieee_div_zero 0
		.amdhsa_exception_fp_ieee_overflow 0
		.amdhsa_exception_fp_ieee_underflow 0
		.amdhsa_exception_fp_ieee_inexact 0
		.amdhsa_exception_int_div_zero 0
	.end_amdhsa_kernel
	.section	.text._ZL19rocblas_axpy_kernelIlLi256EfPK16rocblas_bfloat16PKS2_PKPS0_EviT2_lT3_lT_lT4_lSA_li,"axG",@progbits,_ZL19rocblas_axpy_kernelIlLi256EfPK16rocblas_bfloat16PKS2_PKPS0_EviT2_lT3_lT_lT4_lSA_li,comdat
.Lfunc_end170:
	.size	_ZL19rocblas_axpy_kernelIlLi256EfPK16rocblas_bfloat16PKS2_PKPS0_EviT2_lT3_lT_lT4_lSA_li, .Lfunc_end170-_ZL19rocblas_axpy_kernelIlLi256EfPK16rocblas_bfloat16PKS2_PKPS0_EviT2_lT3_lT_lT4_lSA_li
                                        ; -- End function
	.section	.AMDGPU.csdata,"",@progbits
; Kernel info:
; codeLenInByte = 596
; NumSgprs: 18
; NumVgprs: 8
; ScratchSize: 0
; MemoryBound: 0
; FloatMode: 240
; IeeeMode: 1
; LDSByteSize: 0 bytes/workgroup (compile time only)
; SGPRBlocks: 2
; VGPRBlocks: 0
; NumSGPRsForWavesPerEU: 18
; NumVGPRsForWavesPerEU: 8
; Occupancy: 16
; WaveLimiterHint : 1
; COMPUTE_PGM_RSRC2:SCRATCH_EN: 0
; COMPUTE_PGM_RSRC2:USER_SGPR: 14
; COMPUTE_PGM_RSRC2:TRAP_HANDLER: 0
; COMPUTE_PGM_RSRC2:TGID_X_EN: 1
; COMPUTE_PGM_RSRC2:TGID_Y_EN: 0
; COMPUTE_PGM_RSRC2:TGID_Z_EN: 1
; COMPUTE_PGM_RSRC2:TIDIG_COMP_CNT: 0
	.section	.text._ZL19rocblas_axpy_kernelIlLi256Ef16rocblas_bfloat16PKPKS0_PKPS0_EviT2_lT3_lT_lT4_lSA_li,"axG",@progbits,_ZL19rocblas_axpy_kernelIlLi256Ef16rocblas_bfloat16PKPKS0_PKPS0_EviT2_lT3_lT_lT4_lSA_li,comdat
	.globl	_ZL19rocblas_axpy_kernelIlLi256Ef16rocblas_bfloat16PKPKS0_PKPS0_EviT2_lT3_lT_lT4_lSA_li ; -- Begin function _ZL19rocblas_axpy_kernelIlLi256Ef16rocblas_bfloat16PKPKS0_PKPS0_EviT2_lT3_lT_lT4_lSA_li
	.p2align	8
	.type	_ZL19rocblas_axpy_kernelIlLi256Ef16rocblas_bfloat16PKPKS0_PKPS0_EviT2_lT3_lT_lT4_lSA_li,@function
_ZL19rocblas_axpy_kernelIlLi256Ef16rocblas_bfloat16PKPKS0_PKPS0_EviT2_lT3_lT_lT4_lSA_li: ; @_ZL19rocblas_axpy_kernelIlLi256Ef16rocblas_bfloat16PKPKS0_PKPS0_EviT2_lT3_lT_lT4_lSA_li
; %bb.0:
	s_load_b64 s[2:3], s[0:1], 0x0
	v_lshl_or_b32 v0, s14, 8, v0
	v_mov_b32_e32 v1, 0
	s_mov_b32 s9, 0
	s_waitcnt lgkmcnt(0)
	v_and_b32_e64 v2, 0x7fff, s3
	s_ashr_i32 s5, s2, 31
	s_mov_b32 s4, s2
	s_delay_alu instid0(SALU_CYCLE_1) | instskip(NEXT) | instid1(VALU_DEP_2)
	v_cmp_gt_i64_e32 vcc_lo, s[4:5], v[0:1]
	v_cmp_ne_u16_e64 s2, 0, v2
	s_delay_alu instid0(VALU_DEP_1) | instskip(NEXT) | instid1(SALU_CYCLE_1)
	s_and_b32 s2, vcc_lo, s2
	s_and_saveexec_b32 s4, s2
	s_cbranch_execz .LBB171_10
; %bb.1:
	s_mov_b32 s8, s15
	s_clause 0x2
	s_load_b128 s[12:15], s[0:1], 0x18
	s_load_b64 s[10:11], s[0:1], 0x10
	s_load_b128 s[4:7], s[0:1], 0x38
	s_and_b32 s16, s3, 0xffff
	s_lshl_b64 s[2:3], s[8:9], 3
	s_waitcnt lgkmcnt(0)
	v_mad_u64_u32 v[1:2], null, v0, s14, 0
	s_add_u32 s8, s10, s2
	s_addc_u32 s9, s11, s3
	s_load_b64 s[8:9], s[8:9], 0x0
	s_load_b64 s[0:1], s[0:1], 0x30
	s_lshl_b64 s[10:11], s[12:13], 1
	s_delay_alu instid0(VALU_DEP_1) | instskip(SKIP_1) | instid1(VALU_DEP_1)
	v_mad_u64_u32 v[3:4], null, v0, s15, v[2:3]
	v_mad_u64_u32 v[4:5], null, v0, s6, 0
	v_dual_mov_b32 v2, v3 :: v_dual_mov_b32 v3, v5
	s_delay_alu instid0(VALU_DEP_1) | instskip(NEXT) | instid1(VALU_DEP_2)
	v_lshlrev_b64 v[1:2], 1, v[1:2]
	v_mad_u64_u32 v[5:6], null, v0, s7, v[3:4]
	s_waitcnt lgkmcnt(0)
	s_add_u32 s6, s10, s8
	s_addc_u32 s8, s11, s9
	s_add_u32 s0, s0, s2
	s_addc_u32 s1, s1, s3
	v_add_co_u32 v0, vcc_lo, s6, v1
	s_load_b64 s[0:1], s[0:1], 0x0
	v_add_co_ci_u32_e32 v1, vcc_lo, s8, v2, vcc_lo
	s_lshl_b64 s[2:3], s[4:5], 1
	global_load_u16 v3, v[0:1], off
	v_lshlrev_b64 v[0:1], 1, v[4:5]
	s_waitcnt lgkmcnt(0)
	s_add_u32 s0, s2, s0
	s_addc_u32 s1, s3, s1
	s_delay_alu instid0(VALU_DEP_1) | instskip(NEXT) | instid1(VALU_DEP_2)
	v_add_co_u32 v0, vcc_lo, s0, v0
	v_add_co_ci_u32_e32 v1, vcc_lo, s1, v1, vcc_lo
	s_lshl_b32 s0, s16, 16
	global_load_u16 v2, v[0:1], off
	s_waitcnt vmcnt(1)
	v_lshlrev_b32_e32 v3, 16, v3
	s_delay_alu instid0(VALU_DEP_1) | instskip(NEXT) | instid1(VALU_DEP_1)
	v_mul_f32_e32 v3, s0, v3
	v_and_b32_e32 v4, 0x7f800000, v3
	s_delay_alu instid0(VALU_DEP_1) | instskip(SKIP_1) | instid1(SALU_CYCLE_1)
	v_cmp_ne_u32_e32 vcc_lo, 0x7f800000, v4
                                        ; implicit-def: $vgpr4
	s_and_saveexec_b32 s0, vcc_lo
	s_xor_b32 s0, exec_lo, s0
; %bb.2:
	v_bfe_u32 v4, v3, 16, 1
	s_delay_alu instid0(VALU_DEP_1)
	v_add3_u32 v4, v3, v4, 0x7fff
                                        ; implicit-def: $vgpr3
; %bb.3:
	s_and_not1_saveexec_b32 s0, s0
; %bb.4:
	v_and_b32_e32 v4, 0xffff, v3
	v_or_b32_e32 v5, 0x10000, v3
	s_delay_alu instid0(VALU_DEP_2) | instskip(NEXT) | instid1(VALU_DEP_2)
	v_cmp_eq_u32_e32 vcc_lo, 0, v4
	v_cndmask_b32_e32 v4, v5, v3, vcc_lo
; %bb.5:
	s_or_b32 exec_lo, exec_lo, s0
	s_delay_alu instid0(VALU_DEP_1) | instskip(SKIP_2) | instid1(VALU_DEP_1)
	v_and_b32_e32 v3, 0xffff0000, v4
	s_waitcnt vmcnt(0)
	v_lshlrev_b32_e32 v2, 16, v2
	v_add_f32_e32 v2, v2, v3
	s_delay_alu instid0(VALU_DEP_1) | instskip(NEXT) | instid1(VALU_DEP_1)
	v_and_b32_e32 v3, 0x7f800000, v2
	v_cmp_ne_u32_e32 vcc_lo, 0x7f800000, v3
                                        ; implicit-def: $vgpr3
	s_and_saveexec_b32 s0, vcc_lo
	s_delay_alu instid0(SALU_CYCLE_1)
	s_xor_b32 s0, exec_lo, s0
; %bb.6:
	v_bfe_u32 v3, v2, 16, 1
	s_delay_alu instid0(VALU_DEP_1)
	v_add3_u32 v3, v2, v3, 0x7fff
                                        ; implicit-def: $vgpr2
; %bb.7:
	s_and_not1_saveexec_b32 s0, s0
; %bb.8:
	v_and_b32_e32 v3, 0xffff, v2
	v_or_b32_e32 v4, 0x10000, v2
	s_delay_alu instid0(VALU_DEP_2) | instskip(NEXT) | instid1(VALU_DEP_2)
	v_cmp_eq_u32_e32 vcc_lo, 0, v3
	v_cndmask_b32_e32 v3, v4, v2, vcc_lo
; %bb.9:
	s_or_b32 exec_lo, exec_lo, s0
	global_store_d16_hi_b16 v[0:1], v3, off
.LBB171_10:
	s_nop 0
	s_sendmsg sendmsg(MSG_DEALLOC_VGPRS)
	s_endpgm
	.section	.rodata,"a",@progbits
	.p2align	6, 0x0
	.amdhsa_kernel _ZL19rocblas_axpy_kernelIlLi256Ef16rocblas_bfloat16PKPKS0_PKPS0_EviT2_lT3_lT_lT4_lSA_li
		.amdhsa_group_segment_fixed_size 0
		.amdhsa_private_segment_fixed_size 0
		.amdhsa_kernarg_size 84
		.amdhsa_user_sgpr_count 14
		.amdhsa_user_sgpr_dispatch_ptr 0
		.amdhsa_user_sgpr_queue_ptr 0
		.amdhsa_user_sgpr_kernarg_segment_ptr 1
		.amdhsa_user_sgpr_dispatch_id 0
		.amdhsa_user_sgpr_private_segment_size 0
		.amdhsa_wavefront_size32 1
		.amdhsa_uses_dynamic_stack 0
		.amdhsa_enable_private_segment 0
		.amdhsa_system_sgpr_workgroup_id_x 1
		.amdhsa_system_sgpr_workgroup_id_y 0
		.amdhsa_system_sgpr_workgroup_id_z 1
		.amdhsa_system_sgpr_workgroup_info 0
		.amdhsa_system_vgpr_workitem_id 0
		.amdhsa_next_free_vgpr 7
		.amdhsa_next_free_sgpr 17
		.amdhsa_reserve_vcc 1
		.amdhsa_float_round_mode_32 0
		.amdhsa_float_round_mode_16_64 0
		.amdhsa_float_denorm_mode_32 3
		.amdhsa_float_denorm_mode_16_64 3
		.amdhsa_dx10_clamp 1
		.amdhsa_ieee_mode 1
		.amdhsa_fp16_overflow 0
		.amdhsa_workgroup_processor_mode 1
		.amdhsa_memory_ordered 1
		.amdhsa_forward_progress 0
		.amdhsa_shared_vgpr_count 0
		.amdhsa_exception_fp_ieee_invalid_op 0
		.amdhsa_exception_fp_denorm_src 0
		.amdhsa_exception_fp_ieee_div_zero 0
		.amdhsa_exception_fp_ieee_overflow 0
		.amdhsa_exception_fp_ieee_underflow 0
		.amdhsa_exception_fp_ieee_inexact 0
		.amdhsa_exception_int_div_zero 0
	.end_amdhsa_kernel
	.section	.text._ZL19rocblas_axpy_kernelIlLi256Ef16rocblas_bfloat16PKPKS0_PKPS0_EviT2_lT3_lT_lT4_lSA_li,"axG",@progbits,_ZL19rocblas_axpy_kernelIlLi256Ef16rocblas_bfloat16PKPKS0_PKPS0_EviT2_lT3_lT_lT4_lSA_li,comdat
.Lfunc_end171:
	.size	_ZL19rocblas_axpy_kernelIlLi256Ef16rocblas_bfloat16PKPKS0_PKPS0_EviT2_lT3_lT_lT4_lSA_li, .Lfunc_end171-_ZL19rocblas_axpy_kernelIlLi256Ef16rocblas_bfloat16PKPKS0_PKPS0_EviT2_lT3_lT_lT4_lSA_li
                                        ; -- End function
	.section	.AMDGPU.csdata,"",@progbits
; Kernel info:
; codeLenInByte = 552
; NumSgprs: 19
; NumVgprs: 7
; ScratchSize: 0
; MemoryBound: 0
; FloatMode: 240
; IeeeMode: 1
; LDSByteSize: 0 bytes/workgroup (compile time only)
; SGPRBlocks: 2
; VGPRBlocks: 0
; NumSGPRsForWavesPerEU: 19
; NumVGPRsForWavesPerEU: 7
; Occupancy: 16
; WaveLimiterHint : 1
; COMPUTE_PGM_RSRC2:SCRATCH_EN: 0
; COMPUTE_PGM_RSRC2:USER_SGPR: 14
; COMPUTE_PGM_RSRC2:TRAP_HANDLER: 0
; COMPUTE_PGM_RSRC2:TGID_X_EN: 1
; COMPUTE_PGM_RSRC2:TGID_Y_EN: 0
; COMPUTE_PGM_RSRC2:TGID_Z_EN: 1
; COMPUTE_PGM_RSRC2:TIDIG_COMP_CNT: 0
	.section	.text._ZL26rocblas_haxpy_mod_8_kernelILi256EPKfPKPK16rocblas_bfloat16PKPS2_EviT0_lT1_llT2_lli,"axG",@progbits,_ZL26rocblas_haxpy_mod_8_kernelILi256EPKfPKPK16rocblas_bfloat16PKPS2_EviT0_lT1_llT2_lli,comdat
	.globl	_ZL26rocblas_haxpy_mod_8_kernelILi256EPKfPKPK16rocblas_bfloat16PKPS2_EviT0_lT1_llT2_lli ; -- Begin function _ZL26rocblas_haxpy_mod_8_kernelILi256EPKfPKPK16rocblas_bfloat16PKPS2_EviT0_lT1_llT2_lli
	.p2align	8
	.type	_ZL26rocblas_haxpy_mod_8_kernelILi256EPKfPKPK16rocblas_bfloat16PKPS2_EviT0_lT1_llT2_lli,@function
_ZL26rocblas_haxpy_mod_8_kernelILi256EPKfPKPK16rocblas_bfloat16PKPS2_EviT0_lT1_llT2_lli: ; @_ZL26rocblas_haxpy_mod_8_kernelILi256EPKfPKPK16rocblas_bfloat16PKPS2_EviT0_lT1_llT2_lli
; %bb.0:
	s_clause 0x1
	s_load_b256 s[4:11], s[0:1], 0x8
	s_load_b32 s12, s[0:1], 0x0
	v_lshl_or_b32 v0, s14, 8, v0
	v_mov_b32_e32 v1, 0
	s_waitcnt lgkmcnt(0)
	s_mul_i32 s3, s15, s7
	s_mul_hi_u32 s7, s15, s6
	s_mul_i32 s6, s15, s6
	s_add_i32 s7, s7, s3
	s_ashr_i32 s13, s12, 31
	s_lshl_b64 s[6:7], s[6:7], 2
	v_cmp_gt_i64_e32 vcc_lo, s[12:13], v[0:1]
	s_add_u32 s4, s4, s6
	s_addc_u32 s5, s5, s7
	s_mov_b32 s3, 0
	s_load_b32 s4, s[4:5], 0x0
	s_waitcnt lgkmcnt(0)
	v_cmp_neq_f32_e64 s5, s4, 0
	s_delay_alu instid0(VALU_DEP_1) | instskip(NEXT) | instid1(SALU_CYCLE_1)
	s_and_b32 s5, vcc_lo, s5
	s_and_saveexec_b32 s6, s5
	s_cbranch_execz .LBB172_10
; %bb.1:
	s_mov_b32 s2, s15
	v_lshlrev_b64 v[0:1], 1, v[0:1]
	s_lshl_b64 s[6:7], s[2:3], 3
	s_delay_alu instid0(SALU_CYCLE_1)
	s_add_u32 s2, s8, s6
	s_addc_u32 s3, s9, s7
	s_lshl_b64 s[8:9], s[10:11], 1
	s_load_b64 s[2:3], s[2:3], 0x0
	s_waitcnt lgkmcnt(0)
	s_add_u32 s2, s8, s2
	s_addc_u32 s3, s9, s3
	v_add_co_u32 v2, vcc_lo, s2, v0
	v_add_co_ci_u32_e32 v3, vcc_lo, s3, v1, vcc_lo
	s_load_b128 s[0:3], s[0:1], 0x30
	global_load_u16 v2, v[2:3], off
	s_waitcnt lgkmcnt(0)
	s_add_u32 s0, s0, s6
	s_addc_u32 s1, s1, s7
	s_load_b64 s[0:1], s[0:1], 0x0
	s_waitcnt vmcnt(0)
	v_lshlrev_b32_e32 v2, 16, v2
	s_delay_alu instid0(VALU_DEP_1) | instskip(NEXT) | instid1(VALU_DEP_1)
	v_mul_f32_e32 v3, s4, v2
	v_and_b32_e32 v2, 0x7f800000, v3
	s_delay_alu instid0(VALU_DEP_1) | instskip(SKIP_1) | instid1(SALU_CYCLE_1)
	v_cmp_ne_u32_e32 vcc_lo, 0x7f800000, v2
                                        ; implicit-def: $vgpr2
	s_and_saveexec_b32 s4, vcc_lo
	s_xor_b32 s4, exec_lo, s4
; %bb.2:
	v_bfe_u32 v2, v3, 16, 1
	s_delay_alu instid0(VALU_DEP_1)
	v_add3_u32 v2, v3, v2, 0x7fff
                                        ; implicit-def: $vgpr3
; %bb.3:
	s_and_not1_saveexec_b32 s4, s4
; %bb.4:
	v_and_b32_e32 v2, 0xffff, v3
	v_or_b32_e32 v4, 0x10000, v3
	s_delay_alu instid0(VALU_DEP_2) | instskip(NEXT) | instid1(VALU_DEP_2)
	v_cmp_eq_u32_e32 vcc_lo, 0, v2
	v_cndmask_b32_e32 v2, v4, v3, vcc_lo
; %bb.5:
	s_or_b32 exec_lo, exec_lo, s4
	s_lshl_b64 s[2:3], s[2:3], 1
	s_delay_alu instid0(VALU_DEP_1)
	v_and_b32_e32 v2, 0xffff0000, v2
	s_waitcnt lgkmcnt(0)
	s_add_u32 s0, s2, s0
	s_addc_u32 s1, s3, s1
	v_add_co_u32 v0, vcc_lo, s0, v0
	v_add_co_ci_u32_e32 v1, vcc_lo, s1, v1, vcc_lo
	global_load_u16 v3, v[0:1], off
	s_waitcnt vmcnt(0)
	v_lshlrev_b32_e32 v3, 16, v3
	s_delay_alu instid0(VALU_DEP_1) | instskip(NEXT) | instid1(VALU_DEP_1)
	v_add_f32_e32 v2, v2, v3
	v_and_b32_e32 v3, 0x7f800000, v2
	s_delay_alu instid0(VALU_DEP_1) | instskip(SKIP_1) | instid1(SALU_CYCLE_1)
	v_cmp_ne_u32_e32 vcc_lo, 0x7f800000, v3
                                        ; implicit-def: $vgpr3
	s_and_saveexec_b32 s0, vcc_lo
	s_xor_b32 s0, exec_lo, s0
; %bb.6:
	v_bfe_u32 v3, v2, 16, 1
	s_delay_alu instid0(VALU_DEP_1)
	v_add3_u32 v3, v2, v3, 0x7fff
                                        ; implicit-def: $vgpr2
; %bb.7:
	s_and_not1_saveexec_b32 s0, s0
; %bb.8:
	v_and_b32_e32 v3, 0xffff, v2
	v_or_b32_e32 v4, 0x10000, v2
	s_delay_alu instid0(VALU_DEP_2) | instskip(NEXT) | instid1(VALU_DEP_2)
	v_cmp_eq_u32_e32 vcc_lo, 0, v3
	v_cndmask_b32_e32 v3, v4, v2, vcc_lo
; %bb.9:
	s_or_b32 exec_lo, exec_lo, s0
	global_store_d16_hi_b16 v[0:1], v3, off
.LBB172_10:
	s_nop 0
	s_sendmsg sendmsg(MSG_DEALLOC_VGPRS)
	s_endpgm
	.section	.rodata,"a",@progbits
	.p2align	6, 0x0
	.amdhsa_kernel _ZL26rocblas_haxpy_mod_8_kernelILi256EPKfPKPK16rocblas_bfloat16PKPS2_EviT0_lT1_llT2_lli
		.amdhsa_group_segment_fixed_size 0
		.amdhsa_private_segment_fixed_size 0
		.amdhsa_kernarg_size 76
		.amdhsa_user_sgpr_count 14
		.amdhsa_user_sgpr_dispatch_ptr 0
		.amdhsa_user_sgpr_queue_ptr 0
		.amdhsa_user_sgpr_kernarg_segment_ptr 1
		.amdhsa_user_sgpr_dispatch_id 0
		.amdhsa_user_sgpr_private_segment_size 0
		.amdhsa_wavefront_size32 1
		.amdhsa_uses_dynamic_stack 0
		.amdhsa_enable_private_segment 0
		.amdhsa_system_sgpr_workgroup_id_x 1
		.amdhsa_system_sgpr_workgroup_id_y 0
		.amdhsa_system_sgpr_workgroup_id_z 1
		.amdhsa_system_sgpr_workgroup_info 0
		.amdhsa_system_vgpr_workitem_id 0
		.amdhsa_next_free_vgpr 5
		.amdhsa_next_free_sgpr 16
		.amdhsa_reserve_vcc 1
		.amdhsa_float_round_mode_32 0
		.amdhsa_float_round_mode_16_64 0
		.amdhsa_float_denorm_mode_32 3
		.amdhsa_float_denorm_mode_16_64 3
		.amdhsa_dx10_clamp 1
		.amdhsa_ieee_mode 1
		.amdhsa_fp16_overflow 0
		.amdhsa_workgroup_processor_mode 1
		.amdhsa_memory_ordered 1
		.amdhsa_forward_progress 0
		.amdhsa_shared_vgpr_count 0
		.amdhsa_exception_fp_ieee_invalid_op 0
		.amdhsa_exception_fp_denorm_src 0
		.amdhsa_exception_fp_ieee_div_zero 0
		.amdhsa_exception_fp_ieee_overflow 0
		.amdhsa_exception_fp_ieee_underflow 0
		.amdhsa_exception_fp_ieee_inexact 0
		.amdhsa_exception_int_div_zero 0
	.end_amdhsa_kernel
	.section	.text._ZL26rocblas_haxpy_mod_8_kernelILi256EPKfPKPK16rocblas_bfloat16PKPS2_EviT0_lT1_llT2_lli,"axG",@progbits,_ZL26rocblas_haxpy_mod_8_kernelILi256EPKfPKPK16rocblas_bfloat16PKPS2_EviT0_lT1_llT2_lli,comdat
.Lfunc_end172:
	.size	_ZL26rocblas_haxpy_mod_8_kernelILi256EPKfPKPK16rocblas_bfloat16PKPS2_EviT0_lT1_llT2_lli, .Lfunc_end172-_ZL26rocblas_haxpy_mod_8_kernelILi256EPKfPKPK16rocblas_bfloat16PKPS2_EviT0_lT1_llT2_lli
                                        ; -- End function
	.section	.AMDGPU.csdata,"",@progbits
; Kernel info:
; codeLenInByte = 488
; NumSgprs: 18
; NumVgprs: 5
; ScratchSize: 0
; MemoryBound: 0
; FloatMode: 240
; IeeeMode: 1
; LDSByteSize: 0 bytes/workgroup (compile time only)
; SGPRBlocks: 2
; VGPRBlocks: 0
; NumSGPRsForWavesPerEU: 18
; NumVGPRsForWavesPerEU: 5
; Occupancy: 16
; WaveLimiterHint : 1
; COMPUTE_PGM_RSRC2:SCRATCH_EN: 0
; COMPUTE_PGM_RSRC2:USER_SGPR: 14
; COMPUTE_PGM_RSRC2:TRAP_HANDLER: 0
; COMPUTE_PGM_RSRC2:TGID_X_EN: 1
; COMPUTE_PGM_RSRC2:TGID_Y_EN: 0
; COMPUTE_PGM_RSRC2:TGID_Z_EN: 1
; COMPUTE_PGM_RSRC2:TIDIG_COMP_CNT: 0
	.section	.text._ZL26rocblas_haxpy_mod_8_kernelILi256EfPKPK16rocblas_bfloat16PKPS0_EviT0_lT1_llT2_lli,"axG",@progbits,_ZL26rocblas_haxpy_mod_8_kernelILi256EfPKPK16rocblas_bfloat16PKPS0_EviT0_lT1_llT2_lli,comdat
	.globl	_ZL26rocblas_haxpy_mod_8_kernelILi256EfPKPK16rocblas_bfloat16PKPS0_EviT0_lT1_llT2_lli ; -- Begin function _ZL26rocblas_haxpy_mod_8_kernelILi256EfPKPK16rocblas_bfloat16PKPS0_EviT0_lT1_llT2_lli
	.p2align	8
	.type	_ZL26rocblas_haxpy_mod_8_kernelILi256EfPKPK16rocblas_bfloat16PKPS0_EviT0_lT1_llT2_lli,@function
_ZL26rocblas_haxpy_mod_8_kernelILi256EfPKPK16rocblas_bfloat16PKPS0_EviT0_lT1_llT2_lli: ; @_ZL26rocblas_haxpy_mod_8_kernelILi256EfPKPK16rocblas_bfloat16PKPS0_EviT0_lT1_llT2_lli
; %bb.0:
	s_load_b64 s[4:5], s[0:1], 0x0
	v_mov_b32_e32 v1, 0
	v_lshl_or_b32 v0, s14, 8, v0
	s_mov_b32 s3, 0
	s_waitcnt lgkmcnt(0)
	s_ashr_i32 s7, s4, 31
	s_mov_b32 s6, s4
	v_cmp_neq_f32_e64 s4, s5, 0
	v_cmp_gt_i64_e32 vcc_lo, s[6:7], v[0:1]
	s_delay_alu instid0(VALU_DEP_2) | instskip(NEXT) | instid1(SALU_CYCLE_1)
	s_and_b32 s4, s4, vcc_lo
	s_and_saveexec_b32 s6, s4
	s_cbranch_execz .LBB173_10
; %bb.1:
	s_load_b128 s[8:11], s[0:1], 0x10
	s_mov_b32 s2, s15
	v_lshlrev_b64 v[0:1], 1, v[0:1]
	s_lshl_b64 s[6:7], s[2:3], 3
	s_load_b128 s[0:3], s[0:1], 0x28
	s_waitcnt lgkmcnt(0)
	s_add_u32 s8, s8, s6
	s_addc_u32 s9, s9, s7
	s_lshl_b64 s[10:11], s[10:11], 1
	s_load_b64 s[8:9], s[8:9], 0x0
	s_waitcnt lgkmcnt(0)
	s_add_u32 s4, s10, s8
	s_addc_u32 s8, s11, s9
	v_add_co_u32 v2, vcc_lo, s4, v0
	v_add_co_ci_u32_e32 v3, vcc_lo, s8, v1, vcc_lo
	s_add_u32 s0, s0, s6
	s_addc_u32 s1, s1, s7
	s_load_b64 s[0:1], s[0:1], 0x0
	global_load_u16 v2, v[2:3], off
	s_waitcnt vmcnt(0)
	v_lshlrev_b32_e32 v2, 16, v2
	s_delay_alu instid0(VALU_DEP_1) | instskip(NEXT) | instid1(VALU_DEP_1)
	v_mul_f32_e32 v3, s5, v2
	v_and_b32_e32 v2, 0x7f800000, v3
	s_delay_alu instid0(VALU_DEP_1) | instskip(SKIP_1) | instid1(SALU_CYCLE_1)
	v_cmp_ne_u32_e32 vcc_lo, 0x7f800000, v2
                                        ; implicit-def: $vgpr2
	s_and_saveexec_b32 s4, vcc_lo
	s_xor_b32 s4, exec_lo, s4
; %bb.2:
	v_bfe_u32 v2, v3, 16, 1
	s_delay_alu instid0(VALU_DEP_1)
	v_add3_u32 v2, v3, v2, 0x7fff
                                        ; implicit-def: $vgpr3
; %bb.3:
	s_and_not1_saveexec_b32 s4, s4
; %bb.4:
	v_and_b32_e32 v2, 0xffff, v3
	v_or_b32_e32 v4, 0x10000, v3
	s_delay_alu instid0(VALU_DEP_2) | instskip(NEXT) | instid1(VALU_DEP_2)
	v_cmp_eq_u32_e32 vcc_lo, 0, v2
	v_cndmask_b32_e32 v2, v4, v3, vcc_lo
; %bb.5:
	s_or_b32 exec_lo, exec_lo, s4
	s_lshl_b64 s[2:3], s[2:3], 1
	s_delay_alu instid0(VALU_DEP_1)
	v_and_b32_e32 v2, 0xffff0000, v2
	s_waitcnt lgkmcnt(0)
	s_add_u32 s0, s2, s0
	s_addc_u32 s1, s3, s1
	v_add_co_u32 v0, vcc_lo, s0, v0
	v_add_co_ci_u32_e32 v1, vcc_lo, s1, v1, vcc_lo
	global_load_u16 v3, v[0:1], off
	s_waitcnt vmcnt(0)
	v_lshlrev_b32_e32 v3, 16, v3
	s_delay_alu instid0(VALU_DEP_1) | instskip(NEXT) | instid1(VALU_DEP_1)
	v_add_f32_e32 v2, v2, v3
	v_and_b32_e32 v3, 0x7f800000, v2
	s_delay_alu instid0(VALU_DEP_1) | instskip(SKIP_1) | instid1(SALU_CYCLE_1)
	v_cmp_ne_u32_e32 vcc_lo, 0x7f800000, v3
                                        ; implicit-def: $vgpr3
	s_and_saveexec_b32 s0, vcc_lo
	s_xor_b32 s0, exec_lo, s0
; %bb.6:
	v_bfe_u32 v3, v2, 16, 1
	s_delay_alu instid0(VALU_DEP_1)
	v_add3_u32 v3, v2, v3, 0x7fff
                                        ; implicit-def: $vgpr2
; %bb.7:
	s_and_not1_saveexec_b32 s0, s0
; %bb.8:
	v_and_b32_e32 v3, 0xffff, v2
	v_or_b32_e32 v4, 0x10000, v2
	s_delay_alu instid0(VALU_DEP_2) | instskip(NEXT) | instid1(VALU_DEP_2)
	v_cmp_eq_u32_e32 vcc_lo, 0, v3
	v_cndmask_b32_e32 v3, v4, v2, vcc_lo
; %bb.9:
	s_or_b32 exec_lo, exec_lo, s0
	global_store_d16_hi_b16 v[0:1], v3, off
.LBB173_10:
	s_nop 0
	s_sendmsg sendmsg(MSG_DEALLOC_VGPRS)
	s_endpgm
	.section	.rodata,"a",@progbits
	.p2align	6, 0x0
	.amdhsa_kernel _ZL26rocblas_haxpy_mod_8_kernelILi256EfPKPK16rocblas_bfloat16PKPS0_EviT0_lT1_llT2_lli
		.amdhsa_group_segment_fixed_size 0
		.amdhsa_private_segment_fixed_size 0
		.amdhsa_kernarg_size 68
		.amdhsa_user_sgpr_count 14
		.amdhsa_user_sgpr_dispatch_ptr 0
		.amdhsa_user_sgpr_queue_ptr 0
		.amdhsa_user_sgpr_kernarg_segment_ptr 1
		.amdhsa_user_sgpr_dispatch_id 0
		.amdhsa_user_sgpr_private_segment_size 0
		.amdhsa_wavefront_size32 1
		.amdhsa_uses_dynamic_stack 0
		.amdhsa_enable_private_segment 0
		.amdhsa_system_sgpr_workgroup_id_x 1
		.amdhsa_system_sgpr_workgroup_id_y 0
		.amdhsa_system_sgpr_workgroup_id_z 1
		.amdhsa_system_sgpr_workgroup_info 0
		.amdhsa_system_vgpr_workitem_id 0
		.amdhsa_next_free_vgpr 5
		.amdhsa_next_free_sgpr 16
		.amdhsa_reserve_vcc 1
		.amdhsa_float_round_mode_32 0
		.amdhsa_float_round_mode_16_64 0
		.amdhsa_float_denorm_mode_32 3
		.amdhsa_float_denorm_mode_16_64 3
		.amdhsa_dx10_clamp 1
		.amdhsa_ieee_mode 1
		.amdhsa_fp16_overflow 0
		.amdhsa_workgroup_processor_mode 1
		.amdhsa_memory_ordered 1
		.amdhsa_forward_progress 0
		.amdhsa_shared_vgpr_count 0
		.amdhsa_exception_fp_ieee_invalid_op 0
		.amdhsa_exception_fp_denorm_src 0
		.amdhsa_exception_fp_ieee_div_zero 0
		.amdhsa_exception_fp_ieee_overflow 0
		.amdhsa_exception_fp_ieee_underflow 0
		.amdhsa_exception_fp_ieee_inexact 0
		.amdhsa_exception_int_div_zero 0
	.end_amdhsa_kernel
	.section	.text._ZL26rocblas_haxpy_mod_8_kernelILi256EfPKPK16rocblas_bfloat16PKPS0_EviT0_lT1_llT2_lli,"axG",@progbits,_ZL26rocblas_haxpy_mod_8_kernelILi256EfPKPK16rocblas_bfloat16PKPS0_EviT0_lT1_llT2_lli,comdat
.Lfunc_end173:
	.size	_ZL26rocblas_haxpy_mod_8_kernelILi256EfPKPK16rocblas_bfloat16PKPS0_EviT0_lT1_llT2_lli, .Lfunc_end173-_ZL26rocblas_haxpy_mod_8_kernelILi256EfPKPK16rocblas_bfloat16PKPS0_EviT0_lT1_llT2_lli
                                        ; -- End function
	.section	.AMDGPU.csdata,"",@progbits
; Kernel info:
; codeLenInByte = 444
; NumSgprs: 18
; NumVgprs: 5
; ScratchSize: 0
; MemoryBound: 0
; FloatMode: 240
; IeeeMode: 1
; LDSByteSize: 0 bytes/workgroup (compile time only)
; SGPRBlocks: 2
; VGPRBlocks: 0
; NumSGPRsForWavesPerEU: 18
; NumVGPRsForWavesPerEU: 5
; Occupancy: 16
; WaveLimiterHint : 1
; COMPUTE_PGM_RSRC2:SCRATCH_EN: 0
; COMPUTE_PGM_RSRC2:USER_SGPR: 14
; COMPUTE_PGM_RSRC2:TRAP_HANDLER: 0
; COMPUTE_PGM_RSRC2:TGID_X_EN: 1
; COMPUTE_PGM_RSRC2:TGID_Y_EN: 0
; COMPUTE_PGM_RSRC2:TGID_Z_EN: 1
; COMPUTE_PGM_RSRC2:TIDIG_COMP_CNT: 0
	.section	.text._ZL22rocblas_saxpy_2_kernelILi256EfPKfPKPK16rocblas_bfloat16PKPS2_EviT1_lT2_llT3_lli,"axG",@progbits,_ZL22rocblas_saxpy_2_kernelILi256EfPKfPKPK16rocblas_bfloat16PKPS2_EviT1_lT2_llT3_lli,comdat
	.globl	_ZL22rocblas_saxpy_2_kernelILi256EfPKfPKPK16rocblas_bfloat16PKPS2_EviT1_lT2_llT3_lli ; -- Begin function _ZL22rocblas_saxpy_2_kernelILi256EfPKfPKPK16rocblas_bfloat16PKPS2_EviT1_lT2_llT3_lli
	.p2align	8
	.type	_ZL22rocblas_saxpy_2_kernelILi256EfPKfPKPK16rocblas_bfloat16PKPS2_EviT1_lT2_llT3_lli,@function
_ZL22rocblas_saxpy_2_kernelILi256EfPKfPKPK16rocblas_bfloat16PKPS2_EviT1_lT2_llT3_lli: ; @_ZL22rocblas_saxpy_2_kernelILi256EfPKfPKPK16rocblas_bfloat16PKPS2_EviT1_lT2_llT3_lli
; %bb.0:
	s_load_b128 s[4:7], s[0:1], 0x8
	s_waitcnt lgkmcnt(0)
	s_mul_i32 s3, s15, s7
	s_mul_hi_u32 s7, s15, s6
	s_mul_i32 s6, s15, s6
	s_add_i32 s7, s7, s3
	s_delay_alu instid0(SALU_CYCLE_1) | instskip(NEXT) | instid1(SALU_CYCLE_1)
	s_lshl_b64 s[6:7], s[6:7], 2
	s_add_u32 s4, s4, s6
	s_addc_u32 s5, s5, s7
	s_load_b32 s4, s[4:5], 0x0
	s_waitcnt lgkmcnt(0)
	v_cmp_eq_f32_e64 s3, s4, 0
	s_delay_alu instid0(VALU_DEP_1)
	s_and_b32 vcc_lo, exec_lo, s3
	s_mov_b32 s3, 0
	s_cbranch_vccnz .LBB174_29
; %bb.1:
	s_clause 0x1
	s_load_b128 s[8:11], s[0:1], 0x18
	s_load_b32 s5, s[0:1], 0x0
	s_mov_b32 s2, s15
	v_dual_mov_b32 v3, 0 :: v_dual_lshlrev_b32 v0, 1, v0
	s_lshl_b64 s[6:7], s[2:3], 3
	s_delay_alu instid0(VALU_DEP_1) | instskip(NEXT) | instid1(VALU_DEP_1)
	v_lshl_or_b32 v2, s14, 9, v0
	v_lshlrev_b64 v[0:1], 1, v[2:3]
	s_waitcnt lgkmcnt(0)
	s_add_u32 s2, s8, s6
	s_addc_u32 s3, s9, s7
	s_mov_b32 s8, exec_lo
	s_load_b64 s[2:3], s[2:3], 0x0
	s_load_b128 s[16:19], s[0:1], 0x30
	s_lshl_b64 s[0:1], s[10:11], 1
	s_waitcnt lgkmcnt(0)
	s_add_u32 s2, s2, s0
	s_addc_u32 s3, s3, s1
	s_add_u32 s0, s16, s6
	s_addc_u32 s1, s17, s7
	s_lshl_b64 s[6:7], s[18:19], 1
	s_load_b64 s[0:1], s[0:1], 0x0
	s_waitcnt lgkmcnt(0)
	s_add_u32 s6, s0, s6
	s_addc_u32 s7, s1, s7
	s_add_i32 s0, s5, -1
	s_delay_alu instid0(SALU_CYCLE_1) | instskip(NEXT) | instid1(SALU_CYCLE_1)
	s_ashr_i32 s1, s0, 31
	v_cmpx_gt_i64_e64 s[0:1], v[2:3]
	s_cbranch_execz .LBB174_19
; %bb.2:
	v_add_co_u32 v6, vcc_lo, s2, v0
	v_add_co_ci_u32_e32 v7, vcc_lo, s3, v1, vcc_lo
	v_add_co_u32 v4, vcc_lo, s6, v0
	v_add_co_ci_u32_e32 v5, vcc_lo, s7, v1, vcc_lo
	global_load_u16 v9, v[6:7], off
	global_load_u16 v8, v[4:5], off
	s_waitcnt vmcnt(1)
	v_lshlrev_b32_e32 v9, 16, v9
	s_delay_alu instid0(VALU_DEP_1) | instskip(NEXT) | instid1(VALU_DEP_1)
	v_mul_f32_e32 v9, s4, v9
	v_and_b32_e32 v10, 0x7f800000, v9
	s_delay_alu instid0(VALU_DEP_1) | instskip(SKIP_1) | instid1(SALU_CYCLE_1)
	v_cmp_ne_u32_e32 vcc_lo, 0x7f800000, v10
                                        ; implicit-def: $vgpr10
	s_and_saveexec_b32 s9, vcc_lo
	s_xor_b32 s9, exec_lo, s9
; %bb.3:
	v_bfe_u32 v10, v9, 16, 1
	s_delay_alu instid0(VALU_DEP_1)
	v_add3_u32 v10, v9, v10, 0x7fff
                                        ; implicit-def: $vgpr9
; %bb.4:
	s_and_not1_saveexec_b32 s9, s9
; %bb.5:
	v_and_b32_e32 v10, 0xffff, v9
	v_or_b32_e32 v11, 0x10000, v9
	s_delay_alu instid0(VALU_DEP_2) | instskip(NEXT) | instid1(VALU_DEP_2)
	v_cmp_eq_u32_e32 vcc_lo, 0, v10
	v_cndmask_b32_e32 v10, v11, v9, vcc_lo
; %bb.6:
	s_or_b32 exec_lo, exec_lo, s9
	s_delay_alu instid0(VALU_DEP_1) | instskip(SKIP_2) | instid1(VALU_DEP_1)
	v_and_b32_e32 v9, 0xffff0000, v10
	s_waitcnt vmcnt(0)
	v_lshlrev_b32_e32 v8, 16, v8
	v_add_f32_e32 v8, v8, v9
	s_delay_alu instid0(VALU_DEP_1) | instskip(NEXT) | instid1(VALU_DEP_1)
	v_and_b32_e32 v9, 0x7f800000, v8
	v_cmp_ne_u32_e32 vcc_lo, 0x7f800000, v9
                                        ; implicit-def: $vgpr9
	s_and_saveexec_b32 s9, vcc_lo
	s_delay_alu instid0(SALU_CYCLE_1)
	s_xor_b32 s9, exec_lo, s9
; %bb.7:
	v_bfe_u32 v9, v8, 16, 1
	s_delay_alu instid0(VALU_DEP_1)
	v_add3_u32 v9, v8, v9, 0x7fff
                                        ; implicit-def: $vgpr8
; %bb.8:
	s_and_not1_saveexec_b32 s9, s9
; %bb.9:
	v_and_b32_e32 v9, 0xffff, v8
	v_or_b32_e32 v10, 0x10000, v8
	s_delay_alu instid0(VALU_DEP_2) | instskip(NEXT) | instid1(VALU_DEP_2)
	v_cmp_eq_u32_e32 vcc_lo, 0, v9
	v_cndmask_b32_e32 v9, v10, v8, vcc_lo
; %bb.10:
	s_or_b32 exec_lo, exec_lo, s9
	global_store_d16_hi_b16 v[4:5], v9, off
	global_load_u16 v7, v[6:7], off offset:2
	global_load_u16 v6, v[4:5], off offset:2
	s_waitcnt vmcnt(1)
	v_lshlrev_b32_e32 v7, 16, v7
	s_delay_alu instid0(VALU_DEP_1) | instskip(NEXT) | instid1(VALU_DEP_1)
	v_mul_f32_e32 v7, s4, v7
	v_and_b32_e32 v8, 0x7f800000, v7
	s_delay_alu instid0(VALU_DEP_1) | instskip(SKIP_1) | instid1(SALU_CYCLE_1)
	v_cmp_ne_u32_e32 vcc_lo, 0x7f800000, v8
                                        ; implicit-def: $vgpr8
	s_and_saveexec_b32 s9, vcc_lo
	s_xor_b32 s9, exec_lo, s9
; %bb.11:
	v_bfe_u32 v8, v7, 16, 1
	s_delay_alu instid0(VALU_DEP_1)
	v_add3_u32 v8, v7, v8, 0x7fff
                                        ; implicit-def: $vgpr7
; %bb.12:
	s_and_not1_saveexec_b32 s9, s9
; %bb.13:
	v_and_b32_e32 v8, 0xffff, v7
	v_or_b32_e32 v9, 0x10000, v7
	s_delay_alu instid0(VALU_DEP_2) | instskip(NEXT) | instid1(VALU_DEP_2)
	v_cmp_eq_u32_e32 vcc_lo, 0, v8
	v_cndmask_b32_e32 v8, v9, v7, vcc_lo
; %bb.14:
	s_or_b32 exec_lo, exec_lo, s9
	s_delay_alu instid0(VALU_DEP_1) | instskip(SKIP_2) | instid1(VALU_DEP_1)
	v_and_b32_e32 v7, 0xffff0000, v8
	s_waitcnt vmcnt(0)
	v_lshlrev_b32_e32 v6, 16, v6
	v_add_f32_e32 v6, v6, v7
	s_delay_alu instid0(VALU_DEP_1) | instskip(NEXT) | instid1(VALU_DEP_1)
	v_and_b32_e32 v7, 0x7f800000, v6
	v_cmp_ne_u32_e32 vcc_lo, 0x7f800000, v7
                                        ; implicit-def: $vgpr7
	s_and_saveexec_b32 s9, vcc_lo
	s_delay_alu instid0(SALU_CYCLE_1)
	s_xor_b32 s9, exec_lo, s9
; %bb.15:
	v_bfe_u32 v7, v6, 16, 1
	s_delay_alu instid0(VALU_DEP_1)
	v_add3_u32 v7, v6, v7, 0x7fff
                                        ; implicit-def: $vgpr6
; %bb.16:
	s_and_not1_saveexec_b32 s9, s9
; %bb.17:
	v_and_b32_e32 v7, 0xffff, v6
	v_or_b32_e32 v8, 0x10000, v6
	s_delay_alu instid0(VALU_DEP_2) | instskip(NEXT) | instid1(VALU_DEP_2)
	v_cmp_eq_u32_e32 vcc_lo, 0, v7
	v_cndmask_b32_e32 v7, v8, v6, vcc_lo
; %bb.18:
	s_or_b32 exec_lo, exec_lo, s9
	global_store_d16_hi_b16 v[4:5], v7, off offset:2
.LBB174_19:
	s_or_b32 exec_lo, exec_lo, s8
	v_cmp_eq_u64_e32 vcc_lo, s[0:1], v[2:3]
	s_bitcmp1_b32 s5, 0
	s_cselect_b32 s0, -1, 0
	s_delay_alu instid0(SALU_CYCLE_1) | instskip(NEXT) | instid1(SALU_CYCLE_1)
	s_and_b32 s0, s0, vcc_lo
	s_and_saveexec_b32 s1, s0
	s_cbranch_execz .LBB174_29
; %bb.20:
	v_add_co_u32 v2, vcc_lo, s2, v0
	v_add_co_ci_u32_e32 v3, vcc_lo, s3, v1, vcc_lo
	v_add_co_u32 v0, vcc_lo, s6, v0
	v_add_co_ci_u32_e32 v1, vcc_lo, s7, v1, vcc_lo
	global_load_u16 v3, v[2:3], off
	global_load_u16 v2, v[0:1], off
	s_waitcnt vmcnt(1)
	v_lshlrev_b32_e32 v3, 16, v3
	s_delay_alu instid0(VALU_DEP_1) | instskip(NEXT) | instid1(VALU_DEP_1)
	v_mul_f32_e32 v3, s4, v3
	v_and_b32_e32 v4, 0x7f800000, v3
	s_delay_alu instid0(VALU_DEP_1) | instskip(SKIP_1) | instid1(SALU_CYCLE_1)
	v_cmp_ne_u32_e32 vcc_lo, 0x7f800000, v4
                                        ; implicit-def: $vgpr4
	s_and_saveexec_b32 s0, vcc_lo
	s_xor_b32 s0, exec_lo, s0
; %bb.21:
	v_bfe_u32 v4, v3, 16, 1
	s_delay_alu instid0(VALU_DEP_1)
	v_add3_u32 v4, v3, v4, 0x7fff
                                        ; implicit-def: $vgpr3
; %bb.22:
	s_and_not1_saveexec_b32 s0, s0
; %bb.23:
	v_and_b32_e32 v4, 0xffff, v3
	v_or_b32_e32 v5, 0x10000, v3
	s_delay_alu instid0(VALU_DEP_2) | instskip(NEXT) | instid1(VALU_DEP_2)
	v_cmp_eq_u32_e32 vcc_lo, 0, v4
	v_cndmask_b32_e32 v4, v5, v3, vcc_lo
; %bb.24:
	s_or_b32 exec_lo, exec_lo, s0
	s_delay_alu instid0(VALU_DEP_1) | instskip(SKIP_2) | instid1(VALU_DEP_1)
	v_and_b32_e32 v3, 0xffff0000, v4
	s_waitcnt vmcnt(0)
	v_lshlrev_b32_e32 v2, 16, v2
	v_add_f32_e32 v2, v2, v3
	s_delay_alu instid0(VALU_DEP_1) | instskip(NEXT) | instid1(VALU_DEP_1)
	v_and_b32_e32 v3, 0x7f800000, v2
	v_cmp_ne_u32_e32 vcc_lo, 0x7f800000, v3
                                        ; implicit-def: $vgpr3
	s_and_saveexec_b32 s0, vcc_lo
	s_delay_alu instid0(SALU_CYCLE_1)
	s_xor_b32 s0, exec_lo, s0
; %bb.25:
	v_bfe_u32 v3, v2, 16, 1
	s_delay_alu instid0(VALU_DEP_1)
	v_add3_u32 v3, v2, v3, 0x7fff
                                        ; implicit-def: $vgpr2
; %bb.26:
	s_and_not1_saveexec_b32 s0, s0
; %bb.27:
	v_and_b32_e32 v3, 0xffff, v2
	v_or_b32_e32 v4, 0x10000, v2
	s_delay_alu instid0(VALU_DEP_2) | instskip(NEXT) | instid1(VALU_DEP_2)
	v_cmp_eq_u32_e32 vcc_lo, 0, v3
	v_cndmask_b32_e32 v3, v4, v2, vcc_lo
; %bb.28:
	s_or_b32 exec_lo, exec_lo, s0
	global_store_d16_hi_b16 v[0:1], v3, off
.LBB174_29:
	s_nop 0
	s_sendmsg sendmsg(MSG_DEALLOC_VGPRS)
	s_endpgm
	.section	.rodata,"a",@progbits
	.p2align	6, 0x0
	.amdhsa_kernel _ZL22rocblas_saxpy_2_kernelILi256EfPKfPKPK16rocblas_bfloat16PKPS2_EviT1_lT2_llT3_lli
		.amdhsa_group_segment_fixed_size 0
		.amdhsa_private_segment_fixed_size 0
		.amdhsa_kernarg_size 76
		.amdhsa_user_sgpr_count 14
		.amdhsa_user_sgpr_dispatch_ptr 0
		.amdhsa_user_sgpr_queue_ptr 0
		.amdhsa_user_sgpr_kernarg_segment_ptr 1
		.amdhsa_user_sgpr_dispatch_id 0
		.amdhsa_user_sgpr_private_segment_size 0
		.amdhsa_wavefront_size32 1
		.amdhsa_uses_dynamic_stack 0
		.amdhsa_enable_private_segment 0
		.amdhsa_system_sgpr_workgroup_id_x 1
		.amdhsa_system_sgpr_workgroup_id_y 0
		.amdhsa_system_sgpr_workgroup_id_z 1
		.amdhsa_system_sgpr_workgroup_info 0
		.amdhsa_system_vgpr_workitem_id 0
		.amdhsa_next_free_vgpr 12
		.amdhsa_next_free_sgpr 20
		.amdhsa_reserve_vcc 1
		.amdhsa_float_round_mode_32 0
		.amdhsa_float_round_mode_16_64 0
		.amdhsa_float_denorm_mode_32 3
		.amdhsa_float_denorm_mode_16_64 3
		.amdhsa_dx10_clamp 1
		.amdhsa_ieee_mode 1
		.amdhsa_fp16_overflow 0
		.amdhsa_workgroup_processor_mode 1
		.amdhsa_memory_ordered 1
		.amdhsa_forward_progress 0
		.amdhsa_shared_vgpr_count 0
		.amdhsa_exception_fp_ieee_invalid_op 0
		.amdhsa_exception_fp_denorm_src 0
		.amdhsa_exception_fp_ieee_div_zero 0
		.amdhsa_exception_fp_ieee_overflow 0
		.amdhsa_exception_fp_ieee_underflow 0
		.amdhsa_exception_fp_ieee_inexact 0
		.amdhsa_exception_int_div_zero 0
	.end_amdhsa_kernel
	.section	.text._ZL22rocblas_saxpy_2_kernelILi256EfPKfPKPK16rocblas_bfloat16PKPS2_EviT1_lT2_llT3_lli,"axG",@progbits,_ZL22rocblas_saxpy_2_kernelILi256EfPKfPKPK16rocblas_bfloat16PKPS2_EviT1_lT2_llT3_lli,comdat
.Lfunc_end174:
	.size	_ZL22rocblas_saxpy_2_kernelILi256EfPKfPKPK16rocblas_bfloat16PKPS2_EviT1_lT2_llT3_lli, .Lfunc_end174-_ZL22rocblas_saxpy_2_kernelILi256EfPKfPKPK16rocblas_bfloat16PKPS2_EviT1_lT2_llT3_lli
                                        ; -- End function
	.section	.AMDGPU.csdata,"",@progbits
; Kernel info:
; codeLenInByte = 1064
; NumSgprs: 22
; NumVgprs: 12
; ScratchSize: 0
; MemoryBound: 0
; FloatMode: 240
; IeeeMode: 1
; LDSByteSize: 0 bytes/workgroup (compile time only)
; SGPRBlocks: 2
; VGPRBlocks: 1
; NumSGPRsForWavesPerEU: 22
; NumVGPRsForWavesPerEU: 12
; Occupancy: 16
; WaveLimiterHint : 1
; COMPUTE_PGM_RSRC2:SCRATCH_EN: 0
; COMPUTE_PGM_RSRC2:USER_SGPR: 14
; COMPUTE_PGM_RSRC2:TRAP_HANDLER: 0
; COMPUTE_PGM_RSRC2:TGID_X_EN: 1
; COMPUTE_PGM_RSRC2:TGID_Y_EN: 0
; COMPUTE_PGM_RSRC2:TGID_Z_EN: 1
; COMPUTE_PGM_RSRC2:TIDIG_COMP_CNT: 0
	.section	.text._ZL22rocblas_saxpy_2_kernelILi256EffPKPK16rocblas_bfloat16PKPS0_EviT1_lT2_llT3_lli,"axG",@progbits,_ZL22rocblas_saxpy_2_kernelILi256EffPKPK16rocblas_bfloat16PKPS0_EviT1_lT2_llT3_lli,comdat
	.globl	_ZL22rocblas_saxpy_2_kernelILi256EffPKPK16rocblas_bfloat16PKPS0_EviT1_lT2_llT3_lli ; -- Begin function _ZL22rocblas_saxpy_2_kernelILi256EffPKPK16rocblas_bfloat16PKPS0_EviT1_lT2_llT3_lli
	.p2align	8
	.type	_ZL22rocblas_saxpy_2_kernelILi256EffPKPK16rocblas_bfloat16PKPS0_EviT1_lT2_llT3_lli,@function
_ZL22rocblas_saxpy_2_kernelILi256EffPKPK16rocblas_bfloat16PKPS0_EviT1_lT2_llT3_lli: ; @_ZL22rocblas_saxpy_2_kernelILi256EffPKPK16rocblas_bfloat16PKPS0_EviT1_lT2_llT3_lli
; %bb.0:
	s_load_b64 s[2:3], s[0:1], 0x0
	s_waitcnt lgkmcnt(0)
	v_cmp_eq_f32_e64 s5, s3, 0
	s_delay_alu instid0(VALU_DEP_1)
	s_and_b32 vcc_lo, exec_lo, s5
	s_mov_b32 s5, 0
	s_cbranch_vccnz .LBB175_29
; %bb.1:
	s_clause 0x1
	s_load_b128 s[8:11], s[0:1], 0x10
	s_load_b128 s[16:19], s[0:1], 0x28
	s_mov_b32 s4, s15
	v_dual_mov_b32 v3, 0 :: v_dual_lshlrev_b32 v0, 1, v0
	s_lshl_b64 s[6:7], s[4:5], 3
	s_delay_alu instid0(VALU_DEP_1) | instskip(NEXT) | instid1(VALU_DEP_1)
	v_lshl_or_b32 v2, s14, 9, v0
	v_lshlrev_b64 v[0:1], 1, v[2:3]
	s_waitcnt lgkmcnt(0)
	s_add_u32 s0, s8, s6
	s_addc_u32 s1, s9, s7
	s_lshl_b64 s[4:5], s[10:11], 1
	s_load_b64 s[0:1], s[0:1], 0x0
	s_mov_b32 s8, exec_lo
	s_waitcnt lgkmcnt(0)
	s_add_u32 s4, s0, s4
	s_addc_u32 s5, s1, s5
	s_add_u32 s0, s16, s6
	s_addc_u32 s1, s17, s7
	s_lshl_b64 s[6:7], s[18:19], 1
	s_load_b64 s[0:1], s[0:1], 0x0
	s_waitcnt lgkmcnt(0)
	s_add_u32 s6, s0, s6
	s_addc_u32 s7, s1, s7
	s_add_i32 s0, s2, -1
	s_delay_alu instid0(SALU_CYCLE_1) | instskip(NEXT) | instid1(SALU_CYCLE_1)
	s_ashr_i32 s1, s0, 31
	v_cmpx_gt_i64_e64 s[0:1], v[2:3]
	s_cbranch_execz .LBB175_19
; %bb.2:
	v_add_co_u32 v6, vcc_lo, s4, v0
	v_add_co_ci_u32_e32 v7, vcc_lo, s5, v1, vcc_lo
	v_add_co_u32 v4, vcc_lo, s6, v0
	v_add_co_ci_u32_e32 v5, vcc_lo, s7, v1, vcc_lo
	global_load_u16 v9, v[6:7], off
	global_load_u16 v8, v[4:5], off
	s_waitcnt vmcnt(1)
	v_lshlrev_b32_e32 v9, 16, v9
	s_delay_alu instid0(VALU_DEP_1) | instskip(NEXT) | instid1(VALU_DEP_1)
	v_mul_f32_e32 v9, s3, v9
	v_and_b32_e32 v10, 0x7f800000, v9
	s_delay_alu instid0(VALU_DEP_1) | instskip(SKIP_1) | instid1(SALU_CYCLE_1)
	v_cmp_ne_u32_e32 vcc_lo, 0x7f800000, v10
                                        ; implicit-def: $vgpr10
	s_and_saveexec_b32 s9, vcc_lo
	s_xor_b32 s9, exec_lo, s9
; %bb.3:
	v_bfe_u32 v10, v9, 16, 1
	s_delay_alu instid0(VALU_DEP_1)
	v_add3_u32 v10, v9, v10, 0x7fff
                                        ; implicit-def: $vgpr9
; %bb.4:
	s_and_not1_saveexec_b32 s9, s9
; %bb.5:
	v_and_b32_e32 v10, 0xffff, v9
	v_or_b32_e32 v11, 0x10000, v9
	s_delay_alu instid0(VALU_DEP_2) | instskip(NEXT) | instid1(VALU_DEP_2)
	v_cmp_eq_u32_e32 vcc_lo, 0, v10
	v_cndmask_b32_e32 v10, v11, v9, vcc_lo
; %bb.6:
	s_or_b32 exec_lo, exec_lo, s9
	s_delay_alu instid0(VALU_DEP_1) | instskip(SKIP_2) | instid1(VALU_DEP_1)
	v_and_b32_e32 v9, 0xffff0000, v10
	s_waitcnt vmcnt(0)
	v_lshlrev_b32_e32 v8, 16, v8
	v_add_f32_e32 v8, v8, v9
	s_delay_alu instid0(VALU_DEP_1) | instskip(NEXT) | instid1(VALU_DEP_1)
	v_and_b32_e32 v9, 0x7f800000, v8
	v_cmp_ne_u32_e32 vcc_lo, 0x7f800000, v9
                                        ; implicit-def: $vgpr9
	s_and_saveexec_b32 s9, vcc_lo
	s_delay_alu instid0(SALU_CYCLE_1)
	s_xor_b32 s9, exec_lo, s9
; %bb.7:
	v_bfe_u32 v9, v8, 16, 1
	s_delay_alu instid0(VALU_DEP_1)
	v_add3_u32 v9, v8, v9, 0x7fff
                                        ; implicit-def: $vgpr8
; %bb.8:
	s_and_not1_saveexec_b32 s9, s9
; %bb.9:
	v_and_b32_e32 v9, 0xffff, v8
	v_or_b32_e32 v10, 0x10000, v8
	s_delay_alu instid0(VALU_DEP_2) | instskip(NEXT) | instid1(VALU_DEP_2)
	v_cmp_eq_u32_e32 vcc_lo, 0, v9
	v_cndmask_b32_e32 v9, v10, v8, vcc_lo
; %bb.10:
	s_or_b32 exec_lo, exec_lo, s9
	global_store_d16_hi_b16 v[4:5], v9, off
	global_load_u16 v7, v[6:7], off offset:2
	global_load_u16 v6, v[4:5], off offset:2
	s_waitcnt vmcnt(1)
	v_lshlrev_b32_e32 v7, 16, v7
	s_delay_alu instid0(VALU_DEP_1) | instskip(NEXT) | instid1(VALU_DEP_1)
	v_mul_f32_e32 v7, s3, v7
	v_and_b32_e32 v8, 0x7f800000, v7
	s_delay_alu instid0(VALU_DEP_1) | instskip(SKIP_1) | instid1(SALU_CYCLE_1)
	v_cmp_ne_u32_e32 vcc_lo, 0x7f800000, v8
                                        ; implicit-def: $vgpr8
	s_and_saveexec_b32 s9, vcc_lo
	s_xor_b32 s9, exec_lo, s9
; %bb.11:
	v_bfe_u32 v8, v7, 16, 1
	s_delay_alu instid0(VALU_DEP_1)
	v_add3_u32 v8, v7, v8, 0x7fff
                                        ; implicit-def: $vgpr7
; %bb.12:
	s_and_not1_saveexec_b32 s9, s9
; %bb.13:
	v_and_b32_e32 v8, 0xffff, v7
	v_or_b32_e32 v9, 0x10000, v7
	s_delay_alu instid0(VALU_DEP_2) | instskip(NEXT) | instid1(VALU_DEP_2)
	v_cmp_eq_u32_e32 vcc_lo, 0, v8
	v_cndmask_b32_e32 v8, v9, v7, vcc_lo
; %bb.14:
	s_or_b32 exec_lo, exec_lo, s9
	s_delay_alu instid0(VALU_DEP_1) | instskip(SKIP_2) | instid1(VALU_DEP_1)
	v_and_b32_e32 v7, 0xffff0000, v8
	s_waitcnt vmcnt(0)
	v_lshlrev_b32_e32 v6, 16, v6
	v_add_f32_e32 v6, v6, v7
	s_delay_alu instid0(VALU_DEP_1) | instskip(NEXT) | instid1(VALU_DEP_1)
	v_and_b32_e32 v7, 0x7f800000, v6
	v_cmp_ne_u32_e32 vcc_lo, 0x7f800000, v7
                                        ; implicit-def: $vgpr7
	s_and_saveexec_b32 s9, vcc_lo
	s_delay_alu instid0(SALU_CYCLE_1)
	s_xor_b32 s9, exec_lo, s9
; %bb.15:
	v_bfe_u32 v7, v6, 16, 1
	s_delay_alu instid0(VALU_DEP_1)
	v_add3_u32 v7, v6, v7, 0x7fff
                                        ; implicit-def: $vgpr6
; %bb.16:
	s_and_not1_saveexec_b32 s9, s9
; %bb.17:
	v_and_b32_e32 v7, 0xffff, v6
	v_or_b32_e32 v8, 0x10000, v6
	s_delay_alu instid0(VALU_DEP_2) | instskip(NEXT) | instid1(VALU_DEP_2)
	v_cmp_eq_u32_e32 vcc_lo, 0, v7
	v_cndmask_b32_e32 v7, v8, v6, vcc_lo
; %bb.18:
	s_or_b32 exec_lo, exec_lo, s9
	global_store_d16_hi_b16 v[4:5], v7, off offset:2
.LBB175_19:
	s_or_b32 exec_lo, exec_lo, s8
	v_cmp_eq_u64_e32 vcc_lo, s[0:1], v[2:3]
	s_bitcmp1_b32 s2, 0
	s_cselect_b32 s0, -1, 0
	s_delay_alu instid0(SALU_CYCLE_1) | instskip(NEXT) | instid1(SALU_CYCLE_1)
	s_and_b32 s0, s0, vcc_lo
	s_and_saveexec_b32 s1, s0
	s_cbranch_execz .LBB175_29
; %bb.20:
	v_add_co_u32 v2, vcc_lo, s4, v0
	v_add_co_ci_u32_e32 v3, vcc_lo, s5, v1, vcc_lo
	v_add_co_u32 v0, vcc_lo, s6, v0
	v_add_co_ci_u32_e32 v1, vcc_lo, s7, v1, vcc_lo
	global_load_u16 v3, v[2:3], off
	global_load_u16 v2, v[0:1], off
	s_waitcnt vmcnt(1)
	v_lshlrev_b32_e32 v3, 16, v3
	s_delay_alu instid0(VALU_DEP_1) | instskip(NEXT) | instid1(VALU_DEP_1)
	v_mul_f32_e32 v3, s3, v3
	v_and_b32_e32 v4, 0x7f800000, v3
	s_delay_alu instid0(VALU_DEP_1) | instskip(SKIP_1) | instid1(SALU_CYCLE_1)
	v_cmp_ne_u32_e32 vcc_lo, 0x7f800000, v4
                                        ; implicit-def: $vgpr4
	s_and_saveexec_b32 s0, vcc_lo
	s_xor_b32 s0, exec_lo, s0
; %bb.21:
	v_bfe_u32 v4, v3, 16, 1
	s_delay_alu instid0(VALU_DEP_1)
	v_add3_u32 v4, v3, v4, 0x7fff
                                        ; implicit-def: $vgpr3
; %bb.22:
	s_and_not1_saveexec_b32 s0, s0
; %bb.23:
	v_and_b32_e32 v4, 0xffff, v3
	v_or_b32_e32 v5, 0x10000, v3
	s_delay_alu instid0(VALU_DEP_2) | instskip(NEXT) | instid1(VALU_DEP_2)
	v_cmp_eq_u32_e32 vcc_lo, 0, v4
	v_cndmask_b32_e32 v4, v5, v3, vcc_lo
; %bb.24:
	s_or_b32 exec_lo, exec_lo, s0
	s_delay_alu instid0(VALU_DEP_1) | instskip(SKIP_2) | instid1(VALU_DEP_1)
	v_and_b32_e32 v3, 0xffff0000, v4
	s_waitcnt vmcnt(0)
	v_lshlrev_b32_e32 v2, 16, v2
	v_add_f32_e32 v2, v2, v3
	s_delay_alu instid0(VALU_DEP_1) | instskip(NEXT) | instid1(VALU_DEP_1)
	v_and_b32_e32 v3, 0x7f800000, v2
	v_cmp_ne_u32_e32 vcc_lo, 0x7f800000, v3
                                        ; implicit-def: $vgpr3
	s_and_saveexec_b32 s0, vcc_lo
	s_delay_alu instid0(SALU_CYCLE_1)
	s_xor_b32 s0, exec_lo, s0
; %bb.25:
	v_bfe_u32 v3, v2, 16, 1
	s_delay_alu instid0(VALU_DEP_1)
	v_add3_u32 v3, v2, v3, 0x7fff
                                        ; implicit-def: $vgpr2
; %bb.26:
	s_and_not1_saveexec_b32 s0, s0
; %bb.27:
	v_and_b32_e32 v3, 0xffff, v2
	v_or_b32_e32 v4, 0x10000, v2
	s_delay_alu instid0(VALU_DEP_2) | instskip(NEXT) | instid1(VALU_DEP_2)
	v_cmp_eq_u32_e32 vcc_lo, 0, v3
	v_cndmask_b32_e32 v3, v4, v2, vcc_lo
; %bb.28:
	s_or_b32 exec_lo, exec_lo, s0
	global_store_d16_hi_b16 v[0:1], v3, off
.LBB175_29:
	s_nop 0
	s_sendmsg sendmsg(MSG_DEALLOC_VGPRS)
	s_endpgm
	.section	.rodata,"a",@progbits
	.p2align	6, 0x0
	.amdhsa_kernel _ZL22rocblas_saxpy_2_kernelILi256EffPKPK16rocblas_bfloat16PKPS0_EviT1_lT2_llT3_lli
		.amdhsa_group_segment_fixed_size 0
		.amdhsa_private_segment_fixed_size 0
		.amdhsa_kernarg_size 68
		.amdhsa_user_sgpr_count 14
		.amdhsa_user_sgpr_dispatch_ptr 0
		.amdhsa_user_sgpr_queue_ptr 0
		.amdhsa_user_sgpr_kernarg_segment_ptr 1
		.amdhsa_user_sgpr_dispatch_id 0
		.amdhsa_user_sgpr_private_segment_size 0
		.amdhsa_wavefront_size32 1
		.amdhsa_uses_dynamic_stack 0
		.amdhsa_enable_private_segment 0
		.amdhsa_system_sgpr_workgroup_id_x 1
		.amdhsa_system_sgpr_workgroup_id_y 0
		.amdhsa_system_sgpr_workgroup_id_z 1
		.amdhsa_system_sgpr_workgroup_info 0
		.amdhsa_system_vgpr_workitem_id 0
		.amdhsa_next_free_vgpr 12
		.amdhsa_next_free_sgpr 20
		.amdhsa_reserve_vcc 1
		.amdhsa_float_round_mode_32 0
		.amdhsa_float_round_mode_16_64 0
		.amdhsa_float_denorm_mode_32 3
		.amdhsa_float_denorm_mode_16_64 3
		.amdhsa_dx10_clamp 1
		.amdhsa_ieee_mode 1
		.amdhsa_fp16_overflow 0
		.amdhsa_workgroup_processor_mode 1
		.amdhsa_memory_ordered 1
		.amdhsa_forward_progress 0
		.amdhsa_shared_vgpr_count 0
		.amdhsa_exception_fp_ieee_invalid_op 0
		.amdhsa_exception_fp_denorm_src 0
		.amdhsa_exception_fp_ieee_div_zero 0
		.amdhsa_exception_fp_ieee_overflow 0
		.amdhsa_exception_fp_ieee_underflow 0
		.amdhsa_exception_fp_ieee_inexact 0
		.amdhsa_exception_int_div_zero 0
	.end_amdhsa_kernel
	.section	.text._ZL22rocblas_saxpy_2_kernelILi256EffPKPK16rocblas_bfloat16PKPS0_EviT1_lT2_llT3_lli,"axG",@progbits,_ZL22rocblas_saxpy_2_kernelILi256EffPKPK16rocblas_bfloat16PKPS0_EviT1_lT2_llT3_lli,comdat
.Lfunc_end175:
	.size	_ZL22rocblas_saxpy_2_kernelILi256EffPKPK16rocblas_bfloat16PKPS0_EviT1_lT2_llT3_lli, .Lfunc_end175-_ZL22rocblas_saxpy_2_kernelILi256EffPKPK16rocblas_bfloat16PKPS0_EviT1_lT2_llT3_lli
                                        ; -- End function
	.section	.AMDGPU.csdata,"",@progbits
; Kernel info:
; codeLenInByte = 1012
; NumSgprs: 22
; NumVgprs: 12
; ScratchSize: 0
; MemoryBound: 0
; FloatMode: 240
; IeeeMode: 1
; LDSByteSize: 0 bytes/workgroup (compile time only)
; SGPRBlocks: 2
; VGPRBlocks: 1
; NumSGPRsForWavesPerEU: 22
; NumVGPRsForWavesPerEU: 12
; Occupancy: 16
; WaveLimiterHint : 1
; COMPUTE_PGM_RSRC2:SCRATCH_EN: 0
; COMPUTE_PGM_RSRC2:USER_SGPR: 14
; COMPUTE_PGM_RSRC2:TRAP_HANDLER: 0
; COMPUTE_PGM_RSRC2:TGID_X_EN: 1
; COMPUTE_PGM_RSRC2:TGID_Y_EN: 0
; COMPUTE_PGM_RSRC2:TGID_Z_EN: 1
; COMPUTE_PGM_RSRC2:TIDIG_COMP_CNT: 0
	.section	.text._ZL27rocblas_axpy_kernel_batchedIiLi128ELi8EfPKfPKPK16rocblas_bfloat16PKPS2_EviT3_lT4_lT_lT5_lSC_li,"axG",@progbits,_ZL27rocblas_axpy_kernel_batchedIiLi128ELi8EfPKfPKPK16rocblas_bfloat16PKPS2_EviT3_lT4_lT_lT5_lSC_li,comdat
	.globl	_ZL27rocblas_axpy_kernel_batchedIiLi128ELi8EfPKfPKPK16rocblas_bfloat16PKPS2_EviT3_lT4_lT_lT5_lSC_li ; -- Begin function _ZL27rocblas_axpy_kernel_batchedIiLi128ELi8EfPKfPKPK16rocblas_bfloat16PKPS2_EviT3_lT4_lT_lT5_lSC_li
	.p2align	8
	.type	_ZL27rocblas_axpy_kernel_batchedIiLi128ELi8EfPKfPKPK16rocblas_bfloat16PKPS2_EviT3_lT4_lT_lT5_lSC_li,@function
_ZL27rocblas_axpy_kernel_batchedIiLi128ELi8EfPKfPKPK16rocblas_bfloat16PKPS2_EviT3_lT4_lT_lT5_lSC_li: ; @_ZL27rocblas_axpy_kernel_batchedIiLi128ELi8EfPKfPKPK16rocblas_bfloat16PKPS2_EviT3_lT4_lT_lT5_lSC_li
; %bb.0:
	s_load_b32 s2, s[0:1], 0x0
	v_dual_mov_b32 v6, 0 :: v_dual_and_b32 v1, 0x3ff, v0
	s_delay_alu instid0(VALU_DEP_1)
	v_lshl_add_u32 v5, s14, 7, v1
	s_waitcnt lgkmcnt(0)
	s_ashr_i32 s3, s2, 31
	s_delay_alu instid0(VALU_DEP_1) | instid1(SALU_CYCLE_1)
	v_cmp_gt_i64_e32 vcc_lo, s[2:3], v[5:6]
	s_and_saveexec_b32 s2, vcc_lo
	s_cbranch_execz .LBB176_45
; %bb.1:
	s_clause 0x3
	s_load_b32 s13, s[0:1], 0x28
	s_load_b32 s14, s[0:1], 0x48
	s_load_b128 s[8:11], s[0:1], 0x38
	s_load_b32 s12, s[0:1], 0x58
	v_bfe_u32 v0, v0, 10, 10
	s_load_b256 s[0:7], s[0:1], 0x8
	s_waitcnt lgkmcnt(0)
	v_mad_u64_u32 v[3:4], null, s13, v5, 0
	v_mad_u64_u32 v[1:2], null, s14, v5, 0
	v_lshlrev_b32_e32 v9, 2, v0
	s_ashr_i32 s13, s13, 31
	s_ashr_i32 s14, s14, 31
	s_delay_alu instid0(VALU_DEP_3) | instskip(NEXT) | instid1(VALU_DEP_1)
	v_mov_b32_e32 v0, v4
	v_mad_u64_u32 v[6:7], null, s13, v5, v[0:1]
	s_delay_alu instid0(VALU_DEP_4) | instskip(SKIP_2) | instid1(VALU_DEP_3)
	v_mad_u64_u32 v[7:8], null, s14, v5, v[2:3]
	v_lshl_add_u32 v5, s15, 5, v9
	s_mov_b32 s13, exec_lo
	v_mov_b32_e32 v4, v6
	s_delay_alu instid0(VALU_DEP_3) | instskip(NEXT) | instid1(VALU_DEP_3)
	v_mov_b32_e32 v2, v7
	v_cmpx_gt_u32_e64 s12, v5
	s_cbranch_execz .LBB176_12
; %bb.2:
	v_mad_u64_u32 v[6:7], null, v5, s2, 0
	s_delay_alu instid0(VALU_DEP_1) | instskip(NEXT) | instid1(VALU_DEP_1)
	v_mov_b32_e32 v0, v7
	v_mad_u64_u32 v[7:8], null, v5, s3, v[0:1]
	s_delay_alu instid0(VALU_DEP_1) | instskip(NEXT) | instid1(VALU_DEP_1)
	v_lshlrev_b64 v[6:7], 2, v[6:7]
	v_add_co_u32 v6, vcc_lo, s0, v6
	s_delay_alu instid0(VALU_DEP_2)
	v_add_co_ci_u32_e32 v7, vcc_lo, s1, v7, vcc_lo
	global_load_b32 v0, v[6:7], off
	s_waitcnt vmcnt(0)
	v_cmp_neq_f32_e32 vcc_lo, 0, v0
	s_and_b32 exec_lo, exec_lo, vcc_lo
	s_cbranch_execz .LBB176_12
; %bb.3:
	v_mov_b32_e32 v6, 0
	v_lshlrev_b64 v[10:11], 1, v[3:4]
	s_lshl_b64 s[14:15], s[6:7], 1
	s_delay_alu instid0(VALU_DEP_2) | instskip(NEXT) | instid1(VALU_DEP_1)
	v_lshlrev_b64 v[6:7], 3, v[5:6]
	v_add_co_u32 v8, vcc_lo, s4, v6
	s_delay_alu instid0(VALU_DEP_2)
	v_add_co_ci_u32_e32 v9, vcc_lo, s5, v7, vcc_lo
	v_add_co_u32 v6, vcc_lo, s8, v6
	v_add_co_ci_u32_e32 v7, vcc_lo, s9, v7, vcc_lo
	global_load_b64 v[8:9], v[8:9], off
	global_load_b64 v[6:7], v[6:7], off
	s_waitcnt vmcnt(1)
	v_add_co_u32 v8, vcc_lo, v8, v10
	v_add_co_ci_u32_e32 v9, vcc_lo, v9, v11, vcc_lo
	s_delay_alu instid0(VALU_DEP_2) | instskip(NEXT) | instid1(VALU_DEP_2)
	v_add_co_u32 v8, vcc_lo, v8, s14
	v_add_co_ci_u32_e32 v9, vcc_lo, s15, v9, vcc_lo
	s_lshl_b64 s[14:15], s[10:11], 1
	global_load_u16 v10, v[8:9], off
	v_lshlrev_b64 v[8:9], 1, v[1:2]
	s_waitcnt vmcnt(1)
	s_delay_alu instid0(VALU_DEP_1) | instskip(NEXT) | instid1(VALU_DEP_2)
	v_add_co_u32 v6, vcc_lo, v6, v8
	v_add_co_ci_u32_e32 v7, vcc_lo, v7, v9, vcc_lo
	s_delay_alu instid0(VALU_DEP_2) | instskip(NEXT) | instid1(VALU_DEP_2)
	v_add_co_u32 v6, vcc_lo, v6, s14
	v_add_co_ci_u32_e32 v7, vcc_lo, s15, v7, vcc_lo
	global_load_u16 v8, v[6:7], off
	s_waitcnt vmcnt(1)
	v_lshlrev_b32_e32 v9, 16, v10
	s_delay_alu instid0(VALU_DEP_1) | instskip(NEXT) | instid1(VALU_DEP_1)
	v_mul_f32_e32 v0, v0, v9
	v_and_b32_e32 v9, 0x7f800000, v0
	s_delay_alu instid0(VALU_DEP_1) | instskip(SKIP_1) | instid1(SALU_CYCLE_1)
	v_cmp_ne_u32_e32 vcc_lo, 0x7f800000, v9
                                        ; implicit-def: $vgpr9
	s_and_saveexec_b32 s14, vcc_lo
	s_xor_b32 s14, exec_lo, s14
; %bb.4:
	v_bfe_u32 v9, v0, 16, 1
	s_delay_alu instid0(VALU_DEP_1)
	v_add3_u32 v9, v0, v9, 0x7fff
                                        ; implicit-def: $vgpr0
; %bb.5:
	s_and_not1_saveexec_b32 s14, s14
; %bb.6:
	v_and_b32_e32 v9, 0xffff, v0
	v_or_b32_e32 v10, 0x10000, v0
	s_delay_alu instid0(VALU_DEP_2) | instskip(NEXT) | instid1(VALU_DEP_2)
	v_cmp_eq_u32_e32 vcc_lo, 0, v9
	v_cndmask_b32_e32 v9, v10, v0, vcc_lo
; %bb.7:
	s_or_b32 exec_lo, exec_lo, s14
	s_delay_alu instid0(VALU_DEP_1) | instskip(SKIP_2) | instid1(VALU_DEP_1)
	v_and_b32_e32 v0, 0xffff0000, v9
	s_waitcnt vmcnt(0)
	v_lshlrev_b32_e32 v8, 16, v8
	v_add_f32_e32 v0, v8, v0
	s_delay_alu instid0(VALU_DEP_1) | instskip(NEXT) | instid1(VALU_DEP_1)
	v_and_b32_e32 v8, 0x7f800000, v0
	v_cmp_ne_u32_e32 vcc_lo, 0x7f800000, v8
                                        ; implicit-def: $vgpr8
	s_and_saveexec_b32 s14, vcc_lo
	s_delay_alu instid0(SALU_CYCLE_1)
	s_xor_b32 s14, exec_lo, s14
; %bb.8:
	v_bfe_u32 v8, v0, 16, 1
	s_delay_alu instid0(VALU_DEP_1)
	v_add3_u32 v8, v0, v8, 0x7fff
                                        ; implicit-def: $vgpr0
; %bb.9:
	s_and_not1_saveexec_b32 s14, s14
; %bb.10:
	v_and_b32_e32 v8, 0xffff, v0
	v_or_b32_e32 v9, 0x10000, v0
	s_delay_alu instid0(VALU_DEP_2) | instskip(NEXT) | instid1(VALU_DEP_2)
	v_cmp_eq_u32_e32 vcc_lo, 0, v8
	v_cndmask_b32_e32 v8, v9, v0, vcc_lo
; %bb.11:
	s_or_b32 exec_lo, exec_lo, s14
	global_store_d16_hi_b16 v[6:7], v8, off
.LBB176_12:
	s_or_b32 exec_lo, exec_lo, s13
	v_or_b32_e32 v0, 1, v5
	s_mov_b32 s13, exec_lo
	s_delay_alu instid0(VALU_DEP_1)
	v_cmpx_gt_u32_e64 s12, v0
	s_cbranch_execz .LBB176_23
; %bb.13:
	v_mad_u64_u32 v[6:7], null, v0, s2, 0
	s_delay_alu instid0(VALU_DEP_1) | instskip(NEXT) | instid1(VALU_DEP_1)
	v_mad_u64_u32 v[8:9], null, v0, s3, v[7:8]
	v_mov_b32_e32 v7, v8
	s_delay_alu instid0(VALU_DEP_1) | instskip(NEXT) | instid1(VALU_DEP_1)
	v_lshlrev_b64 v[6:7], 2, v[6:7]
	v_add_co_u32 v6, vcc_lo, s0, v6
	s_delay_alu instid0(VALU_DEP_2)
	v_add_co_ci_u32_e32 v7, vcc_lo, s1, v7, vcc_lo
	global_load_b32 v0, v[6:7], off
	s_waitcnt vmcnt(0)
	v_cmp_neq_f32_e32 vcc_lo, 0, v0
	s_and_b32 exec_lo, exec_lo, vcc_lo
	s_cbranch_execz .LBB176_23
; %bb.14:
	v_mov_b32_e32 v6, 0
	v_lshlrev_b64 v[10:11], 1, v[3:4]
	s_lshl_b64 s[14:15], s[6:7], 1
	s_delay_alu instid0(VALU_DEP_2) | instskip(NEXT) | instid1(VALU_DEP_1)
	v_lshlrev_b64 v[6:7], 3, v[5:6]
	v_add_co_u32 v8, vcc_lo, s4, v6
	s_delay_alu instid0(VALU_DEP_2)
	v_add_co_ci_u32_e32 v9, vcc_lo, s5, v7, vcc_lo
	v_add_co_u32 v6, vcc_lo, s8, v6
	v_add_co_ci_u32_e32 v7, vcc_lo, s9, v7, vcc_lo
	global_load_b64 v[8:9], v[8:9], off offset:8
	global_load_b64 v[6:7], v[6:7], off offset:8
	s_waitcnt vmcnt(1)
	v_add_co_u32 v8, vcc_lo, v8, v10
	v_add_co_ci_u32_e32 v9, vcc_lo, v9, v11, vcc_lo
	s_delay_alu instid0(VALU_DEP_2) | instskip(NEXT) | instid1(VALU_DEP_2)
	v_add_co_u32 v8, vcc_lo, v8, s14
	v_add_co_ci_u32_e32 v9, vcc_lo, s15, v9, vcc_lo
	s_lshl_b64 s[14:15], s[10:11], 1
	global_load_u16 v10, v[8:9], off
	v_lshlrev_b64 v[8:9], 1, v[1:2]
	s_waitcnt vmcnt(1)
	s_delay_alu instid0(VALU_DEP_1) | instskip(NEXT) | instid1(VALU_DEP_2)
	v_add_co_u32 v6, vcc_lo, v6, v8
	v_add_co_ci_u32_e32 v7, vcc_lo, v7, v9, vcc_lo
	s_delay_alu instid0(VALU_DEP_2) | instskip(NEXT) | instid1(VALU_DEP_2)
	v_add_co_u32 v6, vcc_lo, v6, s14
	v_add_co_ci_u32_e32 v7, vcc_lo, s15, v7, vcc_lo
	global_load_u16 v8, v[6:7], off
	s_waitcnt vmcnt(1)
	v_lshlrev_b32_e32 v9, 16, v10
	s_delay_alu instid0(VALU_DEP_1) | instskip(NEXT) | instid1(VALU_DEP_1)
	v_mul_f32_e32 v0, v0, v9
	v_and_b32_e32 v9, 0x7f800000, v0
	s_delay_alu instid0(VALU_DEP_1) | instskip(SKIP_1) | instid1(SALU_CYCLE_1)
	v_cmp_ne_u32_e32 vcc_lo, 0x7f800000, v9
                                        ; implicit-def: $vgpr9
	s_and_saveexec_b32 s14, vcc_lo
	s_xor_b32 s14, exec_lo, s14
; %bb.15:
	v_bfe_u32 v9, v0, 16, 1
	s_delay_alu instid0(VALU_DEP_1)
	v_add3_u32 v9, v0, v9, 0x7fff
                                        ; implicit-def: $vgpr0
; %bb.16:
	s_and_not1_saveexec_b32 s14, s14
; %bb.17:
	v_and_b32_e32 v9, 0xffff, v0
	v_or_b32_e32 v10, 0x10000, v0
	s_delay_alu instid0(VALU_DEP_2) | instskip(NEXT) | instid1(VALU_DEP_2)
	v_cmp_eq_u32_e32 vcc_lo, 0, v9
	v_cndmask_b32_e32 v9, v10, v0, vcc_lo
; %bb.18:
	s_or_b32 exec_lo, exec_lo, s14
	s_delay_alu instid0(VALU_DEP_1) | instskip(SKIP_2) | instid1(VALU_DEP_1)
	v_and_b32_e32 v0, 0xffff0000, v9
	s_waitcnt vmcnt(0)
	v_lshlrev_b32_e32 v8, 16, v8
	v_add_f32_e32 v0, v8, v0
	s_delay_alu instid0(VALU_DEP_1) | instskip(NEXT) | instid1(VALU_DEP_1)
	v_and_b32_e32 v8, 0x7f800000, v0
	v_cmp_ne_u32_e32 vcc_lo, 0x7f800000, v8
                                        ; implicit-def: $vgpr8
	s_and_saveexec_b32 s14, vcc_lo
	s_delay_alu instid0(SALU_CYCLE_1)
	s_xor_b32 s14, exec_lo, s14
; %bb.19:
	v_bfe_u32 v8, v0, 16, 1
	s_delay_alu instid0(VALU_DEP_1)
	v_add3_u32 v8, v0, v8, 0x7fff
                                        ; implicit-def: $vgpr0
; %bb.20:
	s_and_not1_saveexec_b32 s14, s14
; %bb.21:
	v_and_b32_e32 v8, 0xffff, v0
	v_or_b32_e32 v9, 0x10000, v0
	s_delay_alu instid0(VALU_DEP_2) | instskip(NEXT) | instid1(VALU_DEP_2)
	v_cmp_eq_u32_e32 vcc_lo, 0, v8
	v_cndmask_b32_e32 v8, v9, v0, vcc_lo
; %bb.22:
	s_or_b32 exec_lo, exec_lo, s14
	global_store_d16_hi_b16 v[6:7], v8, off
.LBB176_23:
	s_or_b32 exec_lo, exec_lo, s13
	v_or_b32_e32 v0, 2, v5
	s_mov_b32 s13, exec_lo
	s_delay_alu instid0(VALU_DEP_1)
	v_cmpx_gt_u32_e64 s12, v0
	s_cbranch_execz .LBB176_34
; %bb.24:
	v_mad_u64_u32 v[6:7], null, v0, s2, 0
	s_delay_alu instid0(VALU_DEP_1) | instskip(NEXT) | instid1(VALU_DEP_1)
	v_mad_u64_u32 v[8:9], null, v0, s3, v[7:8]
	v_mov_b32_e32 v7, v8
	s_delay_alu instid0(VALU_DEP_1) | instskip(NEXT) | instid1(VALU_DEP_1)
	v_lshlrev_b64 v[6:7], 2, v[6:7]
	v_add_co_u32 v6, vcc_lo, s0, v6
	s_delay_alu instid0(VALU_DEP_2)
	v_add_co_ci_u32_e32 v7, vcc_lo, s1, v7, vcc_lo
	global_load_b32 v0, v[6:7], off
	s_waitcnt vmcnt(0)
	v_cmp_neq_f32_e32 vcc_lo, 0, v0
	s_and_b32 exec_lo, exec_lo, vcc_lo
	s_cbranch_execz .LBB176_34
; %bb.25:
	v_mov_b32_e32 v6, 0
	v_lshlrev_b64 v[10:11], 1, v[3:4]
	s_lshl_b64 s[14:15], s[6:7], 1
	s_delay_alu instid0(VALU_DEP_2) | instskip(NEXT) | instid1(VALU_DEP_1)
	v_lshlrev_b64 v[6:7], 3, v[5:6]
	v_add_co_u32 v8, vcc_lo, s4, v6
	s_delay_alu instid0(VALU_DEP_2)
	v_add_co_ci_u32_e32 v9, vcc_lo, s5, v7, vcc_lo
	v_add_co_u32 v6, vcc_lo, s8, v6
	v_add_co_ci_u32_e32 v7, vcc_lo, s9, v7, vcc_lo
	global_load_b64 v[8:9], v[8:9], off offset:16
	global_load_b64 v[6:7], v[6:7], off offset:16
	s_waitcnt vmcnt(1)
	v_add_co_u32 v8, vcc_lo, v8, v10
	v_add_co_ci_u32_e32 v9, vcc_lo, v9, v11, vcc_lo
	s_delay_alu instid0(VALU_DEP_2) | instskip(NEXT) | instid1(VALU_DEP_2)
	v_add_co_u32 v8, vcc_lo, v8, s14
	v_add_co_ci_u32_e32 v9, vcc_lo, s15, v9, vcc_lo
	s_lshl_b64 s[14:15], s[10:11], 1
	global_load_u16 v10, v[8:9], off
	v_lshlrev_b64 v[8:9], 1, v[1:2]
	s_waitcnt vmcnt(1)
	s_delay_alu instid0(VALU_DEP_1) | instskip(NEXT) | instid1(VALU_DEP_2)
	v_add_co_u32 v6, vcc_lo, v6, v8
	v_add_co_ci_u32_e32 v7, vcc_lo, v7, v9, vcc_lo
	s_delay_alu instid0(VALU_DEP_2) | instskip(NEXT) | instid1(VALU_DEP_2)
	v_add_co_u32 v6, vcc_lo, v6, s14
	v_add_co_ci_u32_e32 v7, vcc_lo, s15, v7, vcc_lo
	global_load_u16 v8, v[6:7], off
	s_waitcnt vmcnt(1)
	v_lshlrev_b32_e32 v9, 16, v10
	s_delay_alu instid0(VALU_DEP_1) | instskip(NEXT) | instid1(VALU_DEP_1)
	v_mul_f32_e32 v0, v0, v9
	v_and_b32_e32 v9, 0x7f800000, v0
	s_delay_alu instid0(VALU_DEP_1) | instskip(SKIP_1) | instid1(SALU_CYCLE_1)
	v_cmp_ne_u32_e32 vcc_lo, 0x7f800000, v9
                                        ; implicit-def: $vgpr9
	s_and_saveexec_b32 s14, vcc_lo
	s_xor_b32 s14, exec_lo, s14
; %bb.26:
	v_bfe_u32 v9, v0, 16, 1
	s_delay_alu instid0(VALU_DEP_1)
	v_add3_u32 v9, v0, v9, 0x7fff
                                        ; implicit-def: $vgpr0
; %bb.27:
	s_and_not1_saveexec_b32 s14, s14
; %bb.28:
	v_and_b32_e32 v9, 0xffff, v0
	v_or_b32_e32 v10, 0x10000, v0
	s_delay_alu instid0(VALU_DEP_2) | instskip(NEXT) | instid1(VALU_DEP_2)
	v_cmp_eq_u32_e32 vcc_lo, 0, v9
	v_cndmask_b32_e32 v9, v10, v0, vcc_lo
; %bb.29:
	s_or_b32 exec_lo, exec_lo, s14
	s_delay_alu instid0(VALU_DEP_1) | instskip(SKIP_2) | instid1(VALU_DEP_1)
	v_and_b32_e32 v0, 0xffff0000, v9
	s_waitcnt vmcnt(0)
	v_lshlrev_b32_e32 v8, 16, v8
	v_add_f32_e32 v0, v8, v0
	s_delay_alu instid0(VALU_DEP_1) | instskip(NEXT) | instid1(VALU_DEP_1)
	v_and_b32_e32 v8, 0x7f800000, v0
	v_cmp_ne_u32_e32 vcc_lo, 0x7f800000, v8
                                        ; implicit-def: $vgpr8
	s_and_saveexec_b32 s14, vcc_lo
	s_delay_alu instid0(SALU_CYCLE_1)
	s_xor_b32 s14, exec_lo, s14
; %bb.30:
	v_bfe_u32 v8, v0, 16, 1
	s_delay_alu instid0(VALU_DEP_1)
	v_add3_u32 v8, v0, v8, 0x7fff
                                        ; implicit-def: $vgpr0
; %bb.31:
	s_and_not1_saveexec_b32 s14, s14
; %bb.32:
	v_and_b32_e32 v8, 0xffff, v0
	v_or_b32_e32 v9, 0x10000, v0
	s_delay_alu instid0(VALU_DEP_2) | instskip(NEXT) | instid1(VALU_DEP_2)
	v_cmp_eq_u32_e32 vcc_lo, 0, v8
	v_cndmask_b32_e32 v8, v9, v0, vcc_lo
; %bb.33:
	s_or_b32 exec_lo, exec_lo, s14
	global_store_d16_hi_b16 v[6:7], v8, off
.LBB176_34:
	s_or_b32 exec_lo, exec_lo, s13
	v_or_b32_e32 v0, 3, v5
	s_delay_alu instid0(VALU_DEP_1)
	v_cmp_gt_u32_e32 vcc_lo, s12, v0
	s_and_b32 exec_lo, exec_lo, vcc_lo
	s_cbranch_execz .LBB176_45
; %bb.35:
	v_mad_u64_u32 v[6:7], null, v0, s2, 0
	s_delay_alu instid0(VALU_DEP_1) | instskip(NEXT) | instid1(VALU_DEP_1)
	v_mad_u64_u32 v[8:9], null, v0, s3, v[7:8]
	v_mov_b32_e32 v7, v8
	s_delay_alu instid0(VALU_DEP_1) | instskip(NEXT) | instid1(VALU_DEP_1)
	v_lshlrev_b64 v[6:7], 2, v[6:7]
	v_add_co_u32 v6, vcc_lo, s0, v6
	s_delay_alu instid0(VALU_DEP_2)
	v_add_co_ci_u32_e32 v7, vcc_lo, s1, v7, vcc_lo
	global_load_b32 v7, v[6:7], off
	s_waitcnt vmcnt(0)
	v_cmp_neq_f32_e32 vcc_lo, 0, v7
	s_and_b32 exec_lo, exec_lo, vcc_lo
	s_cbranch_execz .LBB176_45
; %bb.36:
	v_mov_b32_e32 v6, 0
	v_lshlrev_b64 v[3:4], 1, v[3:4]
	s_lshl_b64 s[0:1], s[6:7], 1
	s_delay_alu instid0(VALU_DEP_2) | instskip(NEXT) | instid1(VALU_DEP_1)
	v_lshlrev_b64 v[5:6], 3, v[5:6]
	v_add_co_u32 v8, vcc_lo, s4, v5
	s_delay_alu instid0(VALU_DEP_2)
	v_add_co_ci_u32_e32 v9, vcc_lo, s5, v6, vcc_lo
	v_add_co_u32 v5, vcc_lo, s8, v5
	v_add_co_ci_u32_e32 v6, vcc_lo, s9, v6, vcc_lo
	global_load_b64 v[8:9], v[8:9], off offset:24
	global_load_b64 v[5:6], v[5:6], off offset:24
	s_waitcnt vmcnt(1)
	v_add_co_u32 v0, vcc_lo, v8, v3
	v_add_co_ci_u32_e32 v4, vcc_lo, v9, v4, vcc_lo
	s_delay_alu instid0(VALU_DEP_2) | instskip(NEXT) | instid1(VALU_DEP_2)
	v_add_co_u32 v3, vcc_lo, v0, s0
	v_add_co_ci_u32_e32 v4, vcc_lo, s1, v4, vcc_lo
	v_lshlrev_b64 v[0:1], 1, v[1:2]
	s_lshl_b64 s[0:1], s[10:11], 1
	global_load_u16 v3, v[3:4], off
	s_waitcnt vmcnt(1)
	v_add_co_u32 v0, vcc_lo, v5, v0
	v_add_co_ci_u32_e32 v1, vcc_lo, v6, v1, vcc_lo
	s_delay_alu instid0(VALU_DEP_2) | instskip(NEXT) | instid1(VALU_DEP_2)
	v_add_co_u32 v0, vcc_lo, v0, s0
	v_add_co_ci_u32_e32 v1, vcc_lo, s1, v1, vcc_lo
	global_load_u16 v2, v[0:1], off
	s_waitcnt vmcnt(1)
	v_lshlrev_b32_e32 v3, 16, v3
	s_delay_alu instid0(VALU_DEP_1) | instskip(NEXT) | instid1(VALU_DEP_1)
	v_mul_f32_e32 v3, v7, v3
	v_and_b32_e32 v4, 0x7f800000, v3
	s_delay_alu instid0(VALU_DEP_1) | instskip(SKIP_1) | instid1(SALU_CYCLE_1)
	v_cmp_ne_u32_e32 vcc_lo, 0x7f800000, v4
                                        ; implicit-def: $vgpr4
	s_and_saveexec_b32 s0, vcc_lo
	s_xor_b32 s0, exec_lo, s0
; %bb.37:
	v_bfe_u32 v4, v3, 16, 1
	s_delay_alu instid0(VALU_DEP_1)
	v_add3_u32 v4, v3, v4, 0x7fff
                                        ; implicit-def: $vgpr3
; %bb.38:
	s_and_not1_saveexec_b32 s0, s0
; %bb.39:
	v_and_b32_e32 v4, 0xffff, v3
	v_or_b32_e32 v5, 0x10000, v3
	s_delay_alu instid0(VALU_DEP_2) | instskip(NEXT) | instid1(VALU_DEP_2)
	v_cmp_eq_u32_e32 vcc_lo, 0, v4
	v_cndmask_b32_e32 v4, v5, v3, vcc_lo
; %bb.40:
	s_or_b32 exec_lo, exec_lo, s0
	s_delay_alu instid0(VALU_DEP_1) | instskip(SKIP_2) | instid1(VALU_DEP_1)
	v_and_b32_e32 v3, 0xffff0000, v4
	s_waitcnt vmcnt(0)
	v_lshlrev_b32_e32 v2, 16, v2
	v_add_f32_e32 v2, v2, v3
	s_delay_alu instid0(VALU_DEP_1) | instskip(NEXT) | instid1(VALU_DEP_1)
	v_and_b32_e32 v3, 0x7f800000, v2
	v_cmp_ne_u32_e32 vcc_lo, 0x7f800000, v3
                                        ; implicit-def: $vgpr3
	s_and_saveexec_b32 s0, vcc_lo
	s_delay_alu instid0(SALU_CYCLE_1)
	s_xor_b32 s0, exec_lo, s0
; %bb.41:
	v_bfe_u32 v3, v2, 16, 1
	s_delay_alu instid0(VALU_DEP_1)
	v_add3_u32 v3, v2, v3, 0x7fff
                                        ; implicit-def: $vgpr2
; %bb.42:
	s_and_not1_saveexec_b32 s0, s0
; %bb.43:
	v_and_b32_e32 v3, 0xffff, v2
	v_or_b32_e32 v4, 0x10000, v2
	s_delay_alu instid0(VALU_DEP_2) | instskip(NEXT) | instid1(VALU_DEP_2)
	v_cmp_eq_u32_e32 vcc_lo, 0, v3
	v_cndmask_b32_e32 v3, v4, v2, vcc_lo
; %bb.44:
	s_or_b32 exec_lo, exec_lo, s0
	global_store_d16_hi_b16 v[0:1], v3, off
.LBB176_45:
	s_nop 0
	s_sendmsg sendmsg(MSG_DEALLOC_VGPRS)
	s_endpgm
	.section	.rodata,"a",@progbits
	.p2align	6, 0x0
	.amdhsa_kernel _ZL27rocblas_axpy_kernel_batchedIiLi128ELi8EfPKfPKPK16rocblas_bfloat16PKPS2_EviT3_lT4_lT_lT5_lSC_li
		.amdhsa_group_segment_fixed_size 0
		.amdhsa_private_segment_fixed_size 0
		.amdhsa_kernarg_size 92
		.amdhsa_user_sgpr_count 14
		.amdhsa_user_sgpr_dispatch_ptr 0
		.amdhsa_user_sgpr_queue_ptr 0
		.amdhsa_user_sgpr_kernarg_segment_ptr 1
		.amdhsa_user_sgpr_dispatch_id 0
		.amdhsa_user_sgpr_private_segment_size 0
		.amdhsa_wavefront_size32 1
		.amdhsa_uses_dynamic_stack 0
		.amdhsa_enable_private_segment 0
		.amdhsa_system_sgpr_workgroup_id_x 1
		.amdhsa_system_sgpr_workgroup_id_y 0
		.amdhsa_system_sgpr_workgroup_id_z 1
		.amdhsa_system_sgpr_workgroup_info 0
		.amdhsa_system_vgpr_workitem_id 1
		.amdhsa_next_free_vgpr 12
		.amdhsa_next_free_sgpr 16
		.amdhsa_reserve_vcc 1
		.amdhsa_float_round_mode_32 0
		.amdhsa_float_round_mode_16_64 0
		.amdhsa_float_denorm_mode_32 3
		.amdhsa_float_denorm_mode_16_64 3
		.amdhsa_dx10_clamp 1
		.amdhsa_ieee_mode 1
		.amdhsa_fp16_overflow 0
		.amdhsa_workgroup_processor_mode 1
		.amdhsa_memory_ordered 1
		.amdhsa_forward_progress 0
		.amdhsa_shared_vgpr_count 0
		.amdhsa_exception_fp_ieee_invalid_op 0
		.amdhsa_exception_fp_denorm_src 0
		.amdhsa_exception_fp_ieee_div_zero 0
		.amdhsa_exception_fp_ieee_overflow 0
		.amdhsa_exception_fp_ieee_underflow 0
		.amdhsa_exception_fp_ieee_inexact 0
		.amdhsa_exception_int_div_zero 0
	.end_amdhsa_kernel
	.section	.text._ZL27rocblas_axpy_kernel_batchedIiLi128ELi8EfPKfPKPK16rocblas_bfloat16PKPS2_EviT3_lT4_lT_lT5_lSC_li,"axG",@progbits,_ZL27rocblas_axpy_kernel_batchedIiLi128ELi8EfPKfPKPK16rocblas_bfloat16PKPS2_EviT3_lT4_lT_lT5_lSC_li,comdat
.Lfunc_end176:
	.size	_ZL27rocblas_axpy_kernel_batchedIiLi128ELi8EfPKfPKPK16rocblas_bfloat16PKPS2_EviT3_lT4_lT_lT5_lSC_li, .Lfunc_end176-_ZL27rocblas_axpy_kernel_batchedIiLi128ELi8EfPKfPKPK16rocblas_bfloat16PKPS2_EviT3_lT4_lT_lT5_lSC_li
                                        ; -- End function
	.section	.AMDGPU.csdata,"",@progbits
; Kernel info:
; codeLenInByte = 2180
; NumSgprs: 18
; NumVgprs: 12
; ScratchSize: 0
; MemoryBound: 0
; FloatMode: 240
; IeeeMode: 1
; LDSByteSize: 0 bytes/workgroup (compile time only)
; SGPRBlocks: 2
; VGPRBlocks: 1
; NumSGPRsForWavesPerEU: 18
; NumVGPRsForWavesPerEU: 12
; Occupancy: 16
; WaveLimiterHint : 1
; COMPUTE_PGM_RSRC2:SCRATCH_EN: 0
; COMPUTE_PGM_RSRC2:USER_SGPR: 14
; COMPUTE_PGM_RSRC2:TRAP_HANDLER: 0
; COMPUTE_PGM_RSRC2:TGID_X_EN: 1
; COMPUTE_PGM_RSRC2:TGID_Y_EN: 0
; COMPUTE_PGM_RSRC2:TGID_Z_EN: 1
; COMPUTE_PGM_RSRC2:TIDIG_COMP_CNT: 1
	.section	.text._ZL27rocblas_axpy_kernel_batchedIiLi128ELi8EffPKPK16rocblas_bfloat16PKPS0_EviT3_lT4_lT_lT5_lSA_li,"axG",@progbits,_ZL27rocblas_axpy_kernel_batchedIiLi128ELi8EffPKPK16rocblas_bfloat16PKPS0_EviT3_lT4_lT_lT5_lSA_li,comdat
	.globl	_ZL27rocblas_axpy_kernel_batchedIiLi128ELi8EffPKPK16rocblas_bfloat16PKPS0_EviT3_lT4_lT_lT5_lSA_li ; -- Begin function _ZL27rocblas_axpy_kernel_batchedIiLi128ELi8EffPKPK16rocblas_bfloat16PKPS0_EviT3_lT4_lT_lT5_lSA_li
	.p2align	8
	.type	_ZL27rocblas_axpy_kernel_batchedIiLi128ELi8EffPKPK16rocblas_bfloat16PKPS0_EviT3_lT4_lT_lT5_lSA_li,@function
_ZL27rocblas_axpy_kernel_batchedIiLi128ELi8EffPKPK16rocblas_bfloat16PKPS0_EviT3_lT4_lT_lT5_lSA_li: ; @_ZL27rocblas_axpy_kernel_batchedIiLi128ELi8EffPKPK16rocblas_bfloat16PKPS0_EviT3_lT4_lT_lT5_lSA_li
; %bb.0:
	s_load_b64 s[8:9], s[0:1], 0x0
	v_dual_mov_b32 v2, 0 :: v_dual_and_b32 v1, 0x3ff, v0
	s_delay_alu instid0(VALU_DEP_1)
	v_lshl_add_u32 v1, s14, 7, v1
	s_waitcnt lgkmcnt(0)
	s_ashr_i32 s3, s8, 31
	s_mov_b32 s2, s8
	s_delay_alu instid0(VALU_DEP_1) | instid1(SALU_CYCLE_1)
	v_cmp_gt_i64_e32 vcc_lo, s[2:3], v[1:2]
	s_and_saveexec_b32 s2, vcc_lo
	s_cbranch_execz .LBB177_41
; %bb.1:
	s_clause 0x2
	s_load_b32 s10, s[0:1], 0x20
	s_load_b32 s11, s[0:1], 0x40
	;; [unrolled: 1-line block ×3, first 2 shown]
	v_bfe_u32 v4, v0, 10, 10
	s_clause 0x1
	s_load_b128 s[4:7], s[0:1], 0x10
	s_load_b128 s[0:3], s[0:1], 0x30
	s_waitcnt lgkmcnt(0)
	v_mad_u64_u32 v[2:3], null, s10, v1, 0
	v_mad_u64_u32 v[5:6], null, s11, v1, 0
	s_ashr_i32 s10, s10, 31
	s_ashr_i32 s11, s11, 31
	s_delay_alu instid0(VALU_DEP_1) | instskip(NEXT) | instid1(VALU_DEP_1)
	v_dual_mov_b32 v0, v3 :: v_dual_mov_b32 v3, v6
	v_mad_u64_u32 v[6:7], null, s10, v1, v[0:1]
	s_delay_alu instid0(VALU_DEP_2) | instskip(SKIP_2) | instid1(VALU_DEP_4)
	v_mad_u64_u32 v[7:8], null, s11, v1, v[3:4]
	v_lshlrev_b32_e32 v0, 2, v4
	v_cmp_neq_f32_e64 s10, s9, 0
	v_mov_b32_e32 v3, v6
	s_delay_alu instid0(VALU_DEP_3) | instskip(SKIP_1) | instid1(VALU_DEP_3)
	v_lshl_add_u32 v4, s15, 5, v0
	v_mov_b32_e32 v6, v7
	v_lshlrev_b64 v[2:3], 1, v[2:3]
	s_delay_alu instid0(VALU_DEP_3) | instskip(NEXT) | instid1(VALU_DEP_3)
	v_cmp_gt_u32_e32 vcc_lo, s8, v4
	v_lshlrev_b64 v[0:1], 1, v[5:6]
	s_and_b32 s12, s10, vcc_lo
	s_delay_alu instid0(SALU_CYCLE_1)
	s_and_saveexec_b32 s11, s12
	s_cbranch_execz .LBB177_11
; %bb.2:
	v_mov_b32_e32 v5, 0
	s_lshl_b64 s[12:13], s[6:7], 1
	s_delay_alu instid0(VALU_DEP_1) | instskip(NEXT) | instid1(VALU_DEP_1)
	v_lshlrev_b64 v[5:6], 3, v[4:5]
	v_add_co_u32 v7, vcc_lo, s4, v5
	s_delay_alu instid0(VALU_DEP_2)
	v_add_co_ci_u32_e32 v8, vcc_lo, s5, v6, vcc_lo
	v_add_co_u32 v5, vcc_lo, s0, v5
	v_add_co_ci_u32_e32 v6, vcc_lo, s1, v6, vcc_lo
	global_load_b64 v[7:8], v[7:8], off
	global_load_b64 v[5:6], v[5:6], off
	s_waitcnt vmcnt(1)
	v_add_co_u32 v7, vcc_lo, v7, v2
	v_add_co_ci_u32_e32 v8, vcc_lo, v8, v3, vcc_lo
	s_delay_alu instid0(VALU_DEP_2) | instskip(NEXT) | instid1(VALU_DEP_2)
	v_add_co_u32 v7, vcc_lo, v7, s12
	v_add_co_ci_u32_e32 v8, vcc_lo, s13, v8, vcc_lo
	s_waitcnt vmcnt(0)
	v_add_co_u32 v5, vcc_lo, v5, v0
	v_add_co_ci_u32_e32 v6, vcc_lo, v6, v1, vcc_lo
	global_load_u16 v8, v[7:8], off
	s_lshl_b64 s[12:13], s[2:3], 1
	s_delay_alu instid0(SALU_CYCLE_1) | instskip(SKIP_4) | instid1(VALU_DEP_1)
	v_add_co_u32 v5, vcc_lo, v5, s12
	v_add_co_ci_u32_e32 v6, vcc_lo, s13, v6, vcc_lo
	global_load_u16 v7, v[5:6], off
	s_waitcnt vmcnt(1)
	v_lshlrev_b32_e32 v8, 16, v8
	v_mul_f32_e32 v8, s9, v8
	s_delay_alu instid0(VALU_DEP_1) | instskip(NEXT) | instid1(VALU_DEP_1)
	v_and_b32_e32 v9, 0x7f800000, v8
	v_cmp_ne_u32_e32 vcc_lo, 0x7f800000, v9
                                        ; implicit-def: $vgpr9
	s_and_saveexec_b32 s12, vcc_lo
	s_delay_alu instid0(SALU_CYCLE_1)
	s_xor_b32 s12, exec_lo, s12
; %bb.3:
	v_bfe_u32 v9, v8, 16, 1
	s_delay_alu instid0(VALU_DEP_1)
	v_add3_u32 v9, v8, v9, 0x7fff
                                        ; implicit-def: $vgpr8
; %bb.4:
	s_and_not1_saveexec_b32 s12, s12
; %bb.5:
	v_and_b32_e32 v9, 0xffff, v8
	v_or_b32_e32 v10, 0x10000, v8
	s_delay_alu instid0(VALU_DEP_2) | instskip(NEXT) | instid1(VALU_DEP_2)
	v_cmp_eq_u32_e32 vcc_lo, 0, v9
	v_cndmask_b32_e32 v9, v10, v8, vcc_lo
; %bb.6:
	s_or_b32 exec_lo, exec_lo, s12
	s_delay_alu instid0(VALU_DEP_1) | instskip(SKIP_2) | instid1(VALU_DEP_1)
	v_and_b32_e32 v8, 0xffff0000, v9
	s_waitcnt vmcnt(0)
	v_lshlrev_b32_e32 v7, 16, v7
	v_add_f32_e32 v7, v7, v8
	s_delay_alu instid0(VALU_DEP_1) | instskip(NEXT) | instid1(VALU_DEP_1)
	v_and_b32_e32 v8, 0x7f800000, v7
	v_cmp_ne_u32_e32 vcc_lo, 0x7f800000, v8
                                        ; implicit-def: $vgpr8
	s_and_saveexec_b32 s12, vcc_lo
	s_delay_alu instid0(SALU_CYCLE_1)
	s_xor_b32 s12, exec_lo, s12
; %bb.7:
	v_bfe_u32 v8, v7, 16, 1
	s_delay_alu instid0(VALU_DEP_1)
	v_add3_u32 v8, v7, v8, 0x7fff
                                        ; implicit-def: $vgpr7
; %bb.8:
	s_and_not1_saveexec_b32 s12, s12
; %bb.9:
	v_and_b32_e32 v8, 0xffff, v7
	v_or_b32_e32 v9, 0x10000, v7
	s_delay_alu instid0(VALU_DEP_2) | instskip(NEXT) | instid1(VALU_DEP_2)
	v_cmp_eq_u32_e32 vcc_lo, 0, v8
	v_cndmask_b32_e32 v8, v9, v7, vcc_lo
; %bb.10:
	s_or_b32 exec_lo, exec_lo, s12
	global_store_d16_hi_b16 v[5:6], v8, off
.LBB177_11:
	s_or_b32 exec_lo, exec_lo, s11
	v_or_b32_e32 v5, 1, v4
	s_delay_alu instid0(VALU_DEP_1) | instskip(SKIP_1) | instid1(SALU_CYCLE_1)
	v_cmp_gt_u32_e32 vcc_lo, s8, v5
	s_and_b32 s12, s10, vcc_lo
	s_and_saveexec_b32 s11, s12
	s_cbranch_execz .LBB177_21
; %bb.12:
	v_mov_b32_e32 v5, 0
	s_lshl_b64 s[12:13], s[6:7], 1
	s_delay_alu instid0(VALU_DEP_1) | instskip(NEXT) | instid1(VALU_DEP_1)
	v_lshlrev_b64 v[5:6], 3, v[4:5]
	v_add_co_u32 v7, vcc_lo, s4, v5
	s_delay_alu instid0(VALU_DEP_2)
	v_add_co_ci_u32_e32 v8, vcc_lo, s5, v6, vcc_lo
	v_add_co_u32 v5, vcc_lo, s0, v5
	v_add_co_ci_u32_e32 v6, vcc_lo, s1, v6, vcc_lo
	global_load_b64 v[7:8], v[7:8], off offset:8
	global_load_b64 v[5:6], v[5:6], off offset:8
	s_waitcnt vmcnt(1)
	v_add_co_u32 v7, vcc_lo, v7, v2
	v_add_co_ci_u32_e32 v8, vcc_lo, v8, v3, vcc_lo
	s_delay_alu instid0(VALU_DEP_2) | instskip(NEXT) | instid1(VALU_DEP_2)
	v_add_co_u32 v7, vcc_lo, v7, s12
	v_add_co_ci_u32_e32 v8, vcc_lo, s13, v8, vcc_lo
	s_waitcnt vmcnt(0)
	v_add_co_u32 v5, vcc_lo, v5, v0
	v_add_co_ci_u32_e32 v6, vcc_lo, v6, v1, vcc_lo
	global_load_u16 v8, v[7:8], off
	s_lshl_b64 s[12:13], s[2:3], 1
	s_delay_alu instid0(SALU_CYCLE_1) | instskip(SKIP_4) | instid1(VALU_DEP_1)
	v_add_co_u32 v5, vcc_lo, v5, s12
	v_add_co_ci_u32_e32 v6, vcc_lo, s13, v6, vcc_lo
	global_load_u16 v7, v[5:6], off
	s_waitcnt vmcnt(1)
	v_lshlrev_b32_e32 v8, 16, v8
	v_mul_f32_e32 v8, s9, v8
	s_delay_alu instid0(VALU_DEP_1) | instskip(NEXT) | instid1(VALU_DEP_1)
	v_and_b32_e32 v9, 0x7f800000, v8
	v_cmp_ne_u32_e32 vcc_lo, 0x7f800000, v9
                                        ; implicit-def: $vgpr9
	s_and_saveexec_b32 s12, vcc_lo
	s_delay_alu instid0(SALU_CYCLE_1)
	s_xor_b32 s12, exec_lo, s12
; %bb.13:
	v_bfe_u32 v9, v8, 16, 1
	s_delay_alu instid0(VALU_DEP_1)
	v_add3_u32 v9, v8, v9, 0x7fff
                                        ; implicit-def: $vgpr8
; %bb.14:
	s_and_not1_saveexec_b32 s12, s12
; %bb.15:
	v_and_b32_e32 v9, 0xffff, v8
	v_or_b32_e32 v10, 0x10000, v8
	s_delay_alu instid0(VALU_DEP_2) | instskip(NEXT) | instid1(VALU_DEP_2)
	v_cmp_eq_u32_e32 vcc_lo, 0, v9
	v_cndmask_b32_e32 v9, v10, v8, vcc_lo
; %bb.16:
	s_or_b32 exec_lo, exec_lo, s12
	s_delay_alu instid0(VALU_DEP_1) | instskip(SKIP_2) | instid1(VALU_DEP_1)
	v_and_b32_e32 v8, 0xffff0000, v9
	s_waitcnt vmcnt(0)
	v_lshlrev_b32_e32 v7, 16, v7
	v_add_f32_e32 v7, v7, v8
	s_delay_alu instid0(VALU_DEP_1) | instskip(NEXT) | instid1(VALU_DEP_1)
	v_and_b32_e32 v8, 0x7f800000, v7
	v_cmp_ne_u32_e32 vcc_lo, 0x7f800000, v8
                                        ; implicit-def: $vgpr8
	s_and_saveexec_b32 s12, vcc_lo
	s_delay_alu instid0(SALU_CYCLE_1)
	s_xor_b32 s12, exec_lo, s12
; %bb.17:
	v_bfe_u32 v8, v7, 16, 1
	s_delay_alu instid0(VALU_DEP_1)
	v_add3_u32 v8, v7, v8, 0x7fff
                                        ; implicit-def: $vgpr7
; %bb.18:
	s_and_not1_saveexec_b32 s12, s12
; %bb.19:
	v_and_b32_e32 v8, 0xffff, v7
	v_or_b32_e32 v9, 0x10000, v7
	s_delay_alu instid0(VALU_DEP_2) | instskip(NEXT) | instid1(VALU_DEP_2)
	v_cmp_eq_u32_e32 vcc_lo, 0, v8
	v_cndmask_b32_e32 v8, v9, v7, vcc_lo
; %bb.20:
	s_or_b32 exec_lo, exec_lo, s12
	global_store_d16_hi_b16 v[5:6], v8, off
.LBB177_21:
	s_or_b32 exec_lo, exec_lo, s11
	v_or_b32_e32 v5, 2, v4
	s_delay_alu instid0(VALU_DEP_1) | instskip(SKIP_1) | instid1(SALU_CYCLE_1)
	v_cmp_gt_u32_e32 vcc_lo, s8, v5
	s_and_b32 s12, s10, vcc_lo
	s_and_saveexec_b32 s11, s12
	s_cbranch_execz .LBB177_31
; %bb.22:
	v_mov_b32_e32 v5, 0
	s_lshl_b64 s[12:13], s[6:7], 1
	s_delay_alu instid0(VALU_DEP_1) | instskip(NEXT) | instid1(VALU_DEP_1)
	v_lshlrev_b64 v[5:6], 3, v[4:5]
	v_add_co_u32 v7, vcc_lo, s4, v5
	s_delay_alu instid0(VALU_DEP_2)
	v_add_co_ci_u32_e32 v8, vcc_lo, s5, v6, vcc_lo
	v_add_co_u32 v5, vcc_lo, s0, v5
	v_add_co_ci_u32_e32 v6, vcc_lo, s1, v6, vcc_lo
	global_load_b64 v[7:8], v[7:8], off offset:16
	global_load_b64 v[5:6], v[5:6], off offset:16
	s_waitcnt vmcnt(1)
	v_add_co_u32 v7, vcc_lo, v7, v2
	v_add_co_ci_u32_e32 v8, vcc_lo, v8, v3, vcc_lo
	s_delay_alu instid0(VALU_DEP_2) | instskip(NEXT) | instid1(VALU_DEP_2)
	v_add_co_u32 v7, vcc_lo, v7, s12
	v_add_co_ci_u32_e32 v8, vcc_lo, s13, v8, vcc_lo
	s_waitcnt vmcnt(0)
	v_add_co_u32 v5, vcc_lo, v5, v0
	v_add_co_ci_u32_e32 v6, vcc_lo, v6, v1, vcc_lo
	global_load_u16 v8, v[7:8], off
	s_lshl_b64 s[12:13], s[2:3], 1
	s_delay_alu instid0(SALU_CYCLE_1) | instskip(SKIP_4) | instid1(VALU_DEP_1)
	v_add_co_u32 v5, vcc_lo, v5, s12
	v_add_co_ci_u32_e32 v6, vcc_lo, s13, v6, vcc_lo
	global_load_u16 v7, v[5:6], off
	s_waitcnt vmcnt(1)
	v_lshlrev_b32_e32 v8, 16, v8
	v_mul_f32_e32 v8, s9, v8
	s_delay_alu instid0(VALU_DEP_1) | instskip(NEXT) | instid1(VALU_DEP_1)
	v_and_b32_e32 v9, 0x7f800000, v8
	v_cmp_ne_u32_e32 vcc_lo, 0x7f800000, v9
                                        ; implicit-def: $vgpr9
	s_and_saveexec_b32 s12, vcc_lo
	s_delay_alu instid0(SALU_CYCLE_1)
	s_xor_b32 s12, exec_lo, s12
; %bb.23:
	v_bfe_u32 v9, v8, 16, 1
	s_delay_alu instid0(VALU_DEP_1)
	v_add3_u32 v9, v8, v9, 0x7fff
                                        ; implicit-def: $vgpr8
; %bb.24:
	s_and_not1_saveexec_b32 s12, s12
; %bb.25:
	v_and_b32_e32 v9, 0xffff, v8
	v_or_b32_e32 v10, 0x10000, v8
	s_delay_alu instid0(VALU_DEP_2) | instskip(NEXT) | instid1(VALU_DEP_2)
	v_cmp_eq_u32_e32 vcc_lo, 0, v9
	v_cndmask_b32_e32 v9, v10, v8, vcc_lo
; %bb.26:
	s_or_b32 exec_lo, exec_lo, s12
	s_delay_alu instid0(VALU_DEP_1) | instskip(SKIP_2) | instid1(VALU_DEP_1)
	v_and_b32_e32 v8, 0xffff0000, v9
	s_waitcnt vmcnt(0)
	v_lshlrev_b32_e32 v7, 16, v7
	v_add_f32_e32 v7, v7, v8
	s_delay_alu instid0(VALU_DEP_1) | instskip(NEXT) | instid1(VALU_DEP_1)
	v_and_b32_e32 v8, 0x7f800000, v7
	v_cmp_ne_u32_e32 vcc_lo, 0x7f800000, v8
                                        ; implicit-def: $vgpr8
	s_and_saveexec_b32 s12, vcc_lo
	s_delay_alu instid0(SALU_CYCLE_1)
	s_xor_b32 s12, exec_lo, s12
; %bb.27:
	v_bfe_u32 v8, v7, 16, 1
	s_delay_alu instid0(VALU_DEP_1)
	v_add3_u32 v8, v7, v8, 0x7fff
                                        ; implicit-def: $vgpr7
; %bb.28:
	s_and_not1_saveexec_b32 s12, s12
; %bb.29:
	v_and_b32_e32 v8, 0xffff, v7
	v_or_b32_e32 v9, 0x10000, v7
	s_delay_alu instid0(VALU_DEP_2) | instskip(NEXT) | instid1(VALU_DEP_2)
	v_cmp_eq_u32_e32 vcc_lo, 0, v8
	v_cndmask_b32_e32 v8, v9, v7, vcc_lo
; %bb.30:
	s_or_b32 exec_lo, exec_lo, s12
	global_store_d16_hi_b16 v[5:6], v8, off
.LBB177_31:
	s_or_b32 exec_lo, exec_lo, s11
	v_or_b32_e32 v5, 3, v4
	s_delay_alu instid0(VALU_DEP_1) | instskip(SKIP_1) | instid1(SALU_CYCLE_1)
	v_cmp_gt_u32_e32 vcc_lo, s8, v5
	s_and_b32 s8, s10, vcc_lo
	s_and_b32 exec_lo, exec_lo, s8
	s_cbranch_execz .LBB177_41
; %bb.32:
	v_mov_b32_e32 v5, 0
	s_delay_alu instid0(VALU_DEP_1) | instskip(NEXT) | instid1(VALU_DEP_1)
	v_lshlrev_b64 v[4:5], 3, v[4:5]
	v_add_co_u32 v6, vcc_lo, s4, v4
	s_delay_alu instid0(VALU_DEP_2)
	v_add_co_ci_u32_e32 v7, vcc_lo, s5, v5, vcc_lo
	v_add_co_u32 v4, vcc_lo, s0, v4
	v_add_co_ci_u32_e32 v5, vcc_lo, s1, v5, vcc_lo
	global_load_b64 v[6:7], v[6:7], off offset:24
	s_lshl_b64 s[0:1], s[6:7], 1
	global_load_b64 v[4:5], v[4:5], off offset:24
	s_waitcnt vmcnt(1)
	v_add_co_u32 v2, vcc_lo, v6, v2
	v_add_co_ci_u32_e32 v3, vcc_lo, v7, v3, vcc_lo
	s_delay_alu instid0(VALU_DEP_2) | instskip(NEXT) | instid1(VALU_DEP_2)
	v_add_co_u32 v2, vcc_lo, v2, s0
	v_add_co_ci_u32_e32 v3, vcc_lo, s1, v3, vcc_lo
	s_waitcnt vmcnt(0)
	v_add_co_u32 v0, vcc_lo, v4, v0
	v_add_co_ci_u32_e32 v1, vcc_lo, v5, v1, vcc_lo
	global_load_u16 v3, v[2:3], off
	s_lshl_b64 s[0:1], s[2:3], 1
	s_delay_alu instid0(SALU_CYCLE_1) | instskip(SKIP_4) | instid1(VALU_DEP_1)
	v_add_co_u32 v0, vcc_lo, v0, s0
	v_add_co_ci_u32_e32 v1, vcc_lo, s1, v1, vcc_lo
	global_load_u16 v2, v[0:1], off
	s_waitcnt vmcnt(1)
	v_lshlrev_b32_e32 v3, 16, v3
	v_mul_f32_e32 v3, s9, v3
	s_delay_alu instid0(VALU_DEP_1) | instskip(NEXT) | instid1(VALU_DEP_1)
	v_and_b32_e32 v4, 0x7f800000, v3
	v_cmp_ne_u32_e32 vcc_lo, 0x7f800000, v4
                                        ; implicit-def: $vgpr4
	s_and_saveexec_b32 s0, vcc_lo
	s_delay_alu instid0(SALU_CYCLE_1)
	s_xor_b32 s0, exec_lo, s0
; %bb.33:
	v_bfe_u32 v4, v3, 16, 1
	s_delay_alu instid0(VALU_DEP_1)
	v_add3_u32 v4, v3, v4, 0x7fff
                                        ; implicit-def: $vgpr3
; %bb.34:
	s_and_not1_saveexec_b32 s0, s0
; %bb.35:
	v_and_b32_e32 v4, 0xffff, v3
	v_or_b32_e32 v5, 0x10000, v3
	s_delay_alu instid0(VALU_DEP_2) | instskip(NEXT) | instid1(VALU_DEP_2)
	v_cmp_eq_u32_e32 vcc_lo, 0, v4
	v_cndmask_b32_e32 v4, v5, v3, vcc_lo
; %bb.36:
	s_or_b32 exec_lo, exec_lo, s0
	s_delay_alu instid0(VALU_DEP_1) | instskip(SKIP_2) | instid1(VALU_DEP_1)
	v_and_b32_e32 v3, 0xffff0000, v4
	s_waitcnt vmcnt(0)
	v_lshlrev_b32_e32 v2, 16, v2
	v_add_f32_e32 v2, v2, v3
	s_delay_alu instid0(VALU_DEP_1) | instskip(NEXT) | instid1(VALU_DEP_1)
	v_and_b32_e32 v3, 0x7f800000, v2
	v_cmp_ne_u32_e32 vcc_lo, 0x7f800000, v3
                                        ; implicit-def: $vgpr3
	s_and_saveexec_b32 s0, vcc_lo
	s_delay_alu instid0(SALU_CYCLE_1)
	s_xor_b32 s0, exec_lo, s0
; %bb.37:
	v_bfe_u32 v3, v2, 16, 1
	s_delay_alu instid0(VALU_DEP_1)
	v_add3_u32 v3, v2, v3, 0x7fff
                                        ; implicit-def: $vgpr2
; %bb.38:
	s_and_not1_saveexec_b32 s0, s0
; %bb.39:
	v_and_b32_e32 v3, 0xffff, v2
	v_or_b32_e32 v4, 0x10000, v2
	s_delay_alu instid0(VALU_DEP_2) | instskip(NEXT) | instid1(VALU_DEP_2)
	v_cmp_eq_u32_e32 vcc_lo, 0, v3
	v_cndmask_b32_e32 v3, v4, v2, vcc_lo
; %bb.40:
	s_or_b32 exec_lo, exec_lo, s0
	global_store_d16_hi_b16 v[0:1], v3, off
.LBB177_41:
	s_nop 0
	s_sendmsg sendmsg(MSG_DEALLOC_VGPRS)
	s_endpgm
	.section	.rodata,"a",@progbits
	.p2align	6, 0x0
	.amdhsa_kernel _ZL27rocblas_axpy_kernel_batchedIiLi128ELi8EffPKPK16rocblas_bfloat16PKPS0_EviT3_lT4_lT_lT5_lSA_li
		.amdhsa_group_segment_fixed_size 0
		.amdhsa_private_segment_fixed_size 0
		.amdhsa_kernarg_size 84
		.amdhsa_user_sgpr_count 14
		.amdhsa_user_sgpr_dispatch_ptr 0
		.amdhsa_user_sgpr_queue_ptr 0
		.amdhsa_user_sgpr_kernarg_segment_ptr 1
		.amdhsa_user_sgpr_dispatch_id 0
		.amdhsa_user_sgpr_private_segment_size 0
		.amdhsa_wavefront_size32 1
		.amdhsa_uses_dynamic_stack 0
		.amdhsa_enable_private_segment 0
		.amdhsa_system_sgpr_workgroup_id_x 1
		.amdhsa_system_sgpr_workgroup_id_y 0
		.amdhsa_system_sgpr_workgroup_id_z 1
		.amdhsa_system_sgpr_workgroup_info 0
		.amdhsa_system_vgpr_workitem_id 1
		.amdhsa_next_free_vgpr 11
		.amdhsa_next_free_sgpr 16
		.amdhsa_reserve_vcc 1
		.amdhsa_float_round_mode_32 0
		.amdhsa_float_round_mode_16_64 0
		.amdhsa_float_denorm_mode_32 3
		.amdhsa_float_denorm_mode_16_64 3
		.amdhsa_dx10_clamp 1
		.amdhsa_ieee_mode 1
		.amdhsa_fp16_overflow 0
		.amdhsa_workgroup_processor_mode 1
		.amdhsa_memory_ordered 1
		.amdhsa_forward_progress 0
		.amdhsa_shared_vgpr_count 0
		.amdhsa_exception_fp_ieee_invalid_op 0
		.amdhsa_exception_fp_denorm_src 0
		.amdhsa_exception_fp_ieee_div_zero 0
		.amdhsa_exception_fp_ieee_overflow 0
		.amdhsa_exception_fp_ieee_underflow 0
		.amdhsa_exception_fp_ieee_inexact 0
		.amdhsa_exception_int_div_zero 0
	.end_amdhsa_kernel
	.section	.text._ZL27rocblas_axpy_kernel_batchedIiLi128ELi8EffPKPK16rocblas_bfloat16PKPS0_EviT3_lT4_lT_lT5_lSA_li,"axG",@progbits,_ZL27rocblas_axpy_kernel_batchedIiLi128ELi8EffPKPK16rocblas_bfloat16PKPS0_EviT3_lT4_lT_lT5_lSA_li,comdat
.Lfunc_end177:
	.size	_ZL27rocblas_axpy_kernel_batchedIiLi128ELi8EffPKPK16rocblas_bfloat16PKPS0_EviT3_lT4_lT_lT5_lSA_li, .Lfunc_end177-_ZL27rocblas_axpy_kernel_batchedIiLi128ELi8EffPKPK16rocblas_bfloat16PKPS0_EviT3_lT4_lT_lT5_lSA_li
                                        ; -- End function
	.section	.AMDGPU.csdata,"",@progbits
; Kernel info:
; codeLenInByte = 1848
; NumSgprs: 18
; NumVgprs: 11
; ScratchSize: 0
; MemoryBound: 0
; FloatMode: 240
; IeeeMode: 1
; LDSByteSize: 0 bytes/workgroup (compile time only)
; SGPRBlocks: 2
; VGPRBlocks: 1
; NumSGPRsForWavesPerEU: 18
; NumVGPRsForWavesPerEU: 11
; Occupancy: 16
; WaveLimiterHint : 1
; COMPUTE_PGM_RSRC2:SCRATCH_EN: 0
; COMPUTE_PGM_RSRC2:USER_SGPR: 14
; COMPUTE_PGM_RSRC2:TRAP_HANDLER: 0
; COMPUTE_PGM_RSRC2:TGID_X_EN: 1
; COMPUTE_PGM_RSRC2:TGID_Y_EN: 0
; COMPUTE_PGM_RSRC2:TGID_Z_EN: 1
; COMPUTE_PGM_RSRC2:TIDIG_COMP_CNT: 1
	.section	.text._ZL19rocblas_axpy_kernelIiLi256EfPKfPKPK16rocblas_bfloat16PKPS2_EviT2_lT3_lT_lT4_lSC_li,"axG",@progbits,_ZL19rocblas_axpy_kernelIiLi256EfPKfPKPK16rocblas_bfloat16PKPS2_EviT2_lT3_lT_lT4_lSC_li,comdat
	.globl	_ZL19rocblas_axpy_kernelIiLi256EfPKfPKPK16rocblas_bfloat16PKPS2_EviT2_lT3_lT_lT4_lSC_li ; -- Begin function _ZL19rocblas_axpy_kernelIiLi256EfPKfPKPK16rocblas_bfloat16PKPS2_EviT2_lT3_lT_lT4_lSC_li
	.p2align	8
	.type	_ZL19rocblas_axpy_kernelIiLi256EfPKfPKPK16rocblas_bfloat16PKPS2_EviT2_lT3_lT_lT4_lSC_li,@function
_ZL19rocblas_axpy_kernelIiLi256EfPKfPKPK16rocblas_bfloat16PKPS2_EviT2_lT3_lT_lT4_lSC_li: ; @_ZL19rocblas_axpy_kernelIiLi256EfPKfPKPK16rocblas_bfloat16PKPS2_EviT2_lT3_lT_lT4_lSC_li
; %bb.0:
	s_clause 0x1
	s_load_b128 s[4:7], s[0:1], 0x8
	s_load_b32 s8, s[0:1], 0x0
	v_lshl_or_b32 v0, s14, 8, v0
	v_mov_b32_e32 v1, 0
	s_waitcnt lgkmcnt(0)
	s_mul_i32 s3, s15, s7
	s_mul_hi_u32 s7, s15, s6
	s_mul_i32 s6, s15, s6
	s_add_i32 s7, s7, s3
	s_ashr_i32 s9, s8, 31
	s_lshl_b64 s[6:7], s[6:7], 2
	v_cmp_gt_i64_e32 vcc_lo, s[8:9], v[0:1]
	s_add_u32 s4, s4, s6
	s_addc_u32 s5, s5, s7
	s_mov_b32 s3, 0
	s_load_b32 s4, s[4:5], 0x0
	s_waitcnt lgkmcnt(0)
	v_cmp_neq_f32_e64 s5, s4, 0
	s_delay_alu instid0(VALU_DEP_1) | instskip(NEXT) | instid1(SALU_CYCLE_1)
	s_and_b32 s5, vcc_lo, s5
	s_and_saveexec_b32 s6, s5
	s_cbranch_execz .LBB178_10
; %bb.1:
	s_clause 0x2
	s_load_b32 s5, s[0:1], 0x28
	s_load_b32 s12, s[0:1], 0x48
	s_load_b128 s[8:11], s[0:1], 0x18
	s_mov_b32 s2, s15
	s_delay_alu instid0(SALU_CYCLE_1)
	s_lshl_b64 s[6:7], s[2:3], 3
	s_waitcnt lgkmcnt(0)
	s_ashr_i32 s13, s5, 31
	s_ashr_i32 s14, s12, 31
	s_add_u32 s2, s8, s6
	s_addc_u32 s3, s9, s7
	v_mad_u64_u32 v[1:2], null, s5, v0, 0
	s_load_b64 s[8:9], s[2:3], 0x0
	s_load_b128 s[0:3], s[0:1], 0x38
	s_lshl_b64 s[10:11], s[10:11], 1
	s_delay_alu instid0(VALU_DEP_1) | instskip(SKIP_1) | instid1(VALU_DEP_1)
	v_mad_u64_u32 v[3:4], null, s13, v0, v[2:3]
	v_mad_u64_u32 v[4:5], null, s12, v0, 0
	v_dual_mov_b32 v2, v3 :: v_dual_mov_b32 v3, v5
	s_delay_alu instid0(VALU_DEP_1)
	v_lshlrev_b64 v[1:2], 1, v[1:2]
	s_waitcnt lgkmcnt(0)
	s_add_u32 s5, s10, s8
	s_addc_u32 s8, s11, s9
	s_add_u32 s0, s0, s6
	s_addc_u32 s1, s1, s7
	v_mad_u64_u32 v[5:6], null, s14, v0, v[3:4]
	s_load_b64 s[0:1], s[0:1], 0x0
	v_add_co_u32 v0, vcc_lo, s5, v1
	v_add_co_ci_u32_e32 v1, vcc_lo, s8, v2, vcc_lo
	s_lshl_b64 s[2:3], s[2:3], 1
	global_load_u16 v3, v[0:1], off
	v_lshlrev_b64 v[0:1], 1, v[4:5]
	s_waitcnt lgkmcnt(0)
	s_add_u32 s0, s2, s0
	s_addc_u32 s1, s3, s1
	s_delay_alu instid0(VALU_DEP_1) | instskip(NEXT) | instid1(VALU_DEP_2)
	v_add_co_u32 v0, vcc_lo, s0, v0
	v_add_co_ci_u32_e32 v1, vcc_lo, s1, v1, vcc_lo
	global_load_u16 v2, v[0:1], off
	s_waitcnt vmcnt(1)
	v_lshlrev_b32_e32 v3, 16, v3
	s_delay_alu instid0(VALU_DEP_1) | instskip(NEXT) | instid1(VALU_DEP_1)
	v_mul_f32_e32 v3, s4, v3
	v_and_b32_e32 v4, 0x7f800000, v3
	s_delay_alu instid0(VALU_DEP_1) | instskip(SKIP_1) | instid1(SALU_CYCLE_1)
	v_cmp_ne_u32_e32 vcc_lo, 0x7f800000, v4
                                        ; implicit-def: $vgpr4
	s_and_saveexec_b32 s0, vcc_lo
	s_xor_b32 s0, exec_lo, s0
; %bb.2:
	v_bfe_u32 v4, v3, 16, 1
	s_delay_alu instid0(VALU_DEP_1)
	v_add3_u32 v4, v3, v4, 0x7fff
                                        ; implicit-def: $vgpr3
; %bb.3:
	s_and_not1_saveexec_b32 s0, s0
; %bb.4:
	v_and_b32_e32 v4, 0xffff, v3
	v_or_b32_e32 v5, 0x10000, v3
	s_delay_alu instid0(VALU_DEP_2) | instskip(NEXT) | instid1(VALU_DEP_2)
	v_cmp_eq_u32_e32 vcc_lo, 0, v4
	v_cndmask_b32_e32 v4, v5, v3, vcc_lo
; %bb.5:
	s_or_b32 exec_lo, exec_lo, s0
	s_delay_alu instid0(VALU_DEP_1) | instskip(SKIP_2) | instid1(VALU_DEP_1)
	v_and_b32_e32 v3, 0xffff0000, v4
	s_waitcnt vmcnt(0)
	v_lshlrev_b32_e32 v2, 16, v2
	v_add_f32_e32 v2, v2, v3
	s_delay_alu instid0(VALU_DEP_1) | instskip(NEXT) | instid1(VALU_DEP_1)
	v_and_b32_e32 v3, 0x7f800000, v2
	v_cmp_ne_u32_e32 vcc_lo, 0x7f800000, v3
                                        ; implicit-def: $vgpr3
	s_and_saveexec_b32 s0, vcc_lo
	s_delay_alu instid0(SALU_CYCLE_1)
	s_xor_b32 s0, exec_lo, s0
; %bb.6:
	v_bfe_u32 v3, v2, 16, 1
	s_delay_alu instid0(VALU_DEP_1)
	v_add3_u32 v3, v2, v3, 0x7fff
                                        ; implicit-def: $vgpr2
; %bb.7:
	s_and_not1_saveexec_b32 s0, s0
; %bb.8:
	v_and_b32_e32 v3, 0xffff, v2
	v_or_b32_e32 v4, 0x10000, v2
	s_delay_alu instid0(VALU_DEP_2) | instskip(NEXT) | instid1(VALU_DEP_2)
	v_cmp_eq_u32_e32 vcc_lo, 0, v3
	v_cndmask_b32_e32 v3, v4, v2, vcc_lo
; %bb.9:
	s_or_b32 exec_lo, exec_lo, s0
	global_store_d16_hi_b16 v[0:1], v3, off
.LBB178_10:
	s_nop 0
	s_sendmsg sendmsg(MSG_DEALLOC_VGPRS)
	s_endpgm
	.section	.rodata,"a",@progbits
	.p2align	6, 0x0
	.amdhsa_kernel _ZL19rocblas_axpy_kernelIiLi256EfPKfPKPK16rocblas_bfloat16PKPS2_EviT2_lT3_lT_lT4_lSC_li
		.amdhsa_group_segment_fixed_size 0
		.amdhsa_private_segment_fixed_size 0
		.amdhsa_kernarg_size 92
		.amdhsa_user_sgpr_count 14
		.amdhsa_user_sgpr_dispatch_ptr 0
		.amdhsa_user_sgpr_queue_ptr 0
		.amdhsa_user_sgpr_kernarg_segment_ptr 1
		.amdhsa_user_sgpr_dispatch_id 0
		.amdhsa_user_sgpr_private_segment_size 0
		.amdhsa_wavefront_size32 1
		.amdhsa_uses_dynamic_stack 0
		.amdhsa_enable_private_segment 0
		.amdhsa_system_sgpr_workgroup_id_x 1
		.amdhsa_system_sgpr_workgroup_id_y 0
		.amdhsa_system_sgpr_workgroup_id_z 1
		.amdhsa_system_sgpr_workgroup_info 0
		.amdhsa_system_vgpr_workitem_id 0
		.amdhsa_next_free_vgpr 7
		.amdhsa_next_free_sgpr 16
		.amdhsa_reserve_vcc 1
		.amdhsa_float_round_mode_32 0
		.amdhsa_float_round_mode_16_64 0
		.amdhsa_float_denorm_mode_32 3
		.amdhsa_float_denorm_mode_16_64 3
		.amdhsa_dx10_clamp 1
		.amdhsa_ieee_mode 1
		.amdhsa_fp16_overflow 0
		.amdhsa_workgroup_processor_mode 1
		.amdhsa_memory_ordered 1
		.amdhsa_forward_progress 0
		.amdhsa_shared_vgpr_count 0
		.amdhsa_exception_fp_ieee_invalid_op 0
		.amdhsa_exception_fp_denorm_src 0
		.amdhsa_exception_fp_ieee_div_zero 0
		.amdhsa_exception_fp_ieee_overflow 0
		.amdhsa_exception_fp_ieee_underflow 0
		.amdhsa_exception_fp_ieee_inexact 0
		.amdhsa_exception_int_div_zero 0
	.end_amdhsa_kernel
	.section	.text._ZL19rocblas_axpy_kernelIiLi256EfPKfPKPK16rocblas_bfloat16PKPS2_EviT2_lT3_lT_lT4_lSC_li,"axG",@progbits,_ZL19rocblas_axpy_kernelIiLi256EfPKfPKPK16rocblas_bfloat16PKPS2_EviT2_lT3_lT_lT4_lSC_li,comdat
.Lfunc_end178:
	.size	_ZL19rocblas_axpy_kernelIiLi256EfPKfPKPK16rocblas_bfloat16PKPS2_EviT2_lT3_lT_lT4_lSC_li, .Lfunc_end178-_ZL19rocblas_axpy_kernelIiLi256EfPKfPKPK16rocblas_bfloat16PKPS2_EviT2_lT3_lT_lT4_lSC_li
                                        ; -- End function
	.section	.AMDGPU.csdata,"",@progbits
; Kernel info:
; codeLenInByte = 584
; NumSgprs: 18
; NumVgprs: 7
; ScratchSize: 0
; MemoryBound: 0
; FloatMode: 240
; IeeeMode: 1
; LDSByteSize: 0 bytes/workgroup (compile time only)
; SGPRBlocks: 2
; VGPRBlocks: 0
; NumSGPRsForWavesPerEU: 18
; NumVGPRsForWavesPerEU: 7
; Occupancy: 16
; WaveLimiterHint : 1
; COMPUTE_PGM_RSRC2:SCRATCH_EN: 0
; COMPUTE_PGM_RSRC2:USER_SGPR: 14
; COMPUTE_PGM_RSRC2:TRAP_HANDLER: 0
; COMPUTE_PGM_RSRC2:TGID_X_EN: 1
; COMPUTE_PGM_RSRC2:TGID_Y_EN: 0
; COMPUTE_PGM_RSRC2:TGID_Z_EN: 1
; COMPUTE_PGM_RSRC2:TIDIG_COMP_CNT: 0
	.section	.text._ZL19rocblas_axpy_kernelIiLi256EffPKPK16rocblas_bfloat16PKPS0_EviT2_lT3_lT_lT4_lSA_li,"axG",@progbits,_ZL19rocblas_axpy_kernelIiLi256EffPKPK16rocblas_bfloat16PKPS0_EviT2_lT3_lT_lT4_lSA_li,comdat
	.globl	_ZL19rocblas_axpy_kernelIiLi256EffPKPK16rocblas_bfloat16PKPS0_EviT2_lT3_lT_lT4_lSA_li ; -- Begin function _ZL19rocblas_axpy_kernelIiLi256EffPKPK16rocblas_bfloat16PKPS0_EviT2_lT3_lT_lT4_lSA_li
	.p2align	8
	.type	_ZL19rocblas_axpy_kernelIiLi256EffPKPK16rocblas_bfloat16PKPS0_EviT2_lT3_lT_lT4_lSA_li,@function
_ZL19rocblas_axpy_kernelIiLi256EffPKPK16rocblas_bfloat16PKPS0_EviT2_lT3_lT_lT4_lSA_li: ; @_ZL19rocblas_axpy_kernelIiLi256EffPKPK16rocblas_bfloat16PKPS0_EviT2_lT3_lT_lT4_lSA_li
; %bb.0:
	s_load_b64 s[2:3], s[0:1], 0x0
	v_mov_b32_e32 v1, 0
	v_lshl_or_b32 v0, s14, 8, v0
	s_mov_b32 s5, 0
	s_waitcnt lgkmcnt(0)
	s_ashr_i32 s7, s2, 31
	s_mov_b32 s6, s2
	v_cmp_neq_f32_e64 s2, s3, 0
	v_cmp_gt_i64_e32 vcc_lo, s[6:7], v[0:1]
	s_delay_alu instid0(VALU_DEP_2) | instskip(NEXT) | instid1(SALU_CYCLE_1)
	s_and_b32 s2, s2, vcc_lo
	s_and_saveexec_b32 s6, s2
	s_cbranch_execz .LBB179_10
; %bb.1:
	s_clause 0x2
	s_load_b32 s2, s[0:1], 0x20
	s_load_b32 s14, s[0:1], 0x40
	s_load_b128 s[8:11], s[0:1], 0x10
	s_mov_b32 s4, s15
	s_delay_alu instid0(SALU_CYCLE_1)
	s_lshl_b64 s[12:13], s[4:5], 3
	s_waitcnt lgkmcnt(0)
	s_ashr_i32 s15, s2, 31
	s_ashr_i32 s16, s14, 31
	s_add_u32 s4, s8, s12
	s_addc_u32 s5, s9, s13
	v_mad_u64_u32 v[1:2], null, s2, v0, 0
	s_load_b64 s[8:9], s[4:5], 0x0
	s_load_b128 s[4:7], s[0:1], 0x30
	s_lshl_b64 s[0:1], s[10:11], 1
	s_delay_alu instid0(VALU_DEP_1) | instskip(SKIP_1) | instid1(VALU_DEP_1)
	v_mad_u64_u32 v[3:4], null, s15, v0, v[2:3]
	v_mad_u64_u32 v[4:5], null, s14, v0, 0
	v_dual_mov_b32 v2, v3 :: v_dual_mov_b32 v3, v5
	s_delay_alu instid0(VALU_DEP_1)
	v_lshlrev_b64 v[1:2], 1, v[1:2]
	s_waitcnt lgkmcnt(0)
	s_add_u32 s2, s0, s8
	s_addc_u32 s8, s1, s9
	s_add_u32 s0, s4, s12
	s_addc_u32 s1, s5, s13
	v_mad_u64_u32 v[5:6], null, s16, v0, v[3:4]
	s_load_b64 s[0:1], s[0:1], 0x0
	v_add_co_u32 v0, vcc_lo, s2, v1
	v_add_co_ci_u32_e32 v1, vcc_lo, s8, v2, vcc_lo
	s_lshl_b64 s[4:5], s[6:7], 1
	global_load_u16 v3, v[0:1], off
	v_lshlrev_b64 v[0:1], 1, v[4:5]
	s_waitcnt lgkmcnt(0)
	s_add_u32 s0, s4, s0
	s_addc_u32 s1, s5, s1
	s_delay_alu instid0(VALU_DEP_1) | instskip(NEXT) | instid1(VALU_DEP_2)
	v_add_co_u32 v0, vcc_lo, s0, v0
	v_add_co_ci_u32_e32 v1, vcc_lo, s1, v1, vcc_lo
	global_load_u16 v2, v[0:1], off
	s_waitcnt vmcnt(1)
	v_lshlrev_b32_e32 v3, 16, v3
	s_delay_alu instid0(VALU_DEP_1) | instskip(NEXT) | instid1(VALU_DEP_1)
	v_mul_f32_e32 v3, s3, v3
	v_and_b32_e32 v4, 0x7f800000, v3
	s_delay_alu instid0(VALU_DEP_1) | instskip(SKIP_1) | instid1(SALU_CYCLE_1)
	v_cmp_ne_u32_e32 vcc_lo, 0x7f800000, v4
                                        ; implicit-def: $vgpr4
	s_and_saveexec_b32 s0, vcc_lo
	s_xor_b32 s0, exec_lo, s0
; %bb.2:
	v_bfe_u32 v4, v3, 16, 1
	s_delay_alu instid0(VALU_DEP_1)
	v_add3_u32 v4, v3, v4, 0x7fff
                                        ; implicit-def: $vgpr3
; %bb.3:
	s_and_not1_saveexec_b32 s0, s0
; %bb.4:
	v_and_b32_e32 v4, 0xffff, v3
	v_or_b32_e32 v5, 0x10000, v3
	s_delay_alu instid0(VALU_DEP_2) | instskip(NEXT) | instid1(VALU_DEP_2)
	v_cmp_eq_u32_e32 vcc_lo, 0, v4
	v_cndmask_b32_e32 v4, v5, v3, vcc_lo
; %bb.5:
	s_or_b32 exec_lo, exec_lo, s0
	s_delay_alu instid0(VALU_DEP_1) | instskip(SKIP_2) | instid1(VALU_DEP_1)
	v_and_b32_e32 v3, 0xffff0000, v4
	s_waitcnt vmcnt(0)
	v_lshlrev_b32_e32 v2, 16, v2
	v_add_f32_e32 v2, v2, v3
	s_delay_alu instid0(VALU_DEP_1) | instskip(NEXT) | instid1(VALU_DEP_1)
	v_and_b32_e32 v3, 0x7f800000, v2
	v_cmp_ne_u32_e32 vcc_lo, 0x7f800000, v3
                                        ; implicit-def: $vgpr3
	s_and_saveexec_b32 s0, vcc_lo
	s_delay_alu instid0(SALU_CYCLE_1)
	s_xor_b32 s0, exec_lo, s0
; %bb.6:
	v_bfe_u32 v3, v2, 16, 1
	s_delay_alu instid0(VALU_DEP_1)
	v_add3_u32 v3, v2, v3, 0x7fff
                                        ; implicit-def: $vgpr2
; %bb.7:
	s_and_not1_saveexec_b32 s0, s0
; %bb.8:
	v_and_b32_e32 v3, 0xffff, v2
	v_or_b32_e32 v4, 0x10000, v2
	s_delay_alu instid0(VALU_DEP_2) | instskip(NEXT) | instid1(VALU_DEP_2)
	v_cmp_eq_u32_e32 vcc_lo, 0, v3
	v_cndmask_b32_e32 v3, v4, v2, vcc_lo
; %bb.9:
	s_or_b32 exec_lo, exec_lo, s0
	global_store_d16_hi_b16 v[0:1], v3, off
.LBB179_10:
	s_nop 0
	s_sendmsg sendmsg(MSG_DEALLOC_VGPRS)
	s_endpgm
	.section	.rodata,"a",@progbits
	.p2align	6, 0x0
	.amdhsa_kernel _ZL19rocblas_axpy_kernelIiLi256EffPKPK16rocblas_bfloat16PKPS0_EviT2_lT3_lT_lT4_lSA_li
		.amdhsa_group_segment_fixed_size 0
		.amdhsa_private_segment_fixed_size 0
		.amdhsa_kernarg_size 84
		.amdhsa_user_sgpr_count 14
		.amdhsa_user_sgpr_dispatch_ptr 0
		.amdhsa_user_sgpr_queue_ptr 0
		.amdhsa_user_sgpr_kernarg_segment_ptr 1
		.amdhsa_user_sgpr_dispatch_id 0
		.amdhsa_user_sgpr_private_segment_size 0
		.amdhsa_wavefront_size32 1
		.amdhsa_uses_dynamic_stack 0
		.amdhsa_enable_private_segment 0
		.amdhsa_system_sgpr_workgroup_id_x 1
		.amdhsa_system_sgpr_workgroup_id_y 0
		.amdhsa_system_sgpr_workgroup_id_z 1
		.amdhsa_system_sgpr_workgroup_info 0
		.amdhsa_system_vgpr_workitem_id 0
		.amdhsa_next_free_vgpr 7
		.amdhsa_next_free_sgpr 17
		.amdhsa_reserve_vcc 1
		.amdhsa_float_round_mode_32 0
		.amdhsa_float_round_mode_16_64 0
		.amdhsa_float_denorm_mode_32 3
		.amdhsa_float_denorm_mode_16_64 3
		.amdhsa_dx10_clamp 1
		.amdhsa_ieee_mode 1
		.amdhsa_fp16_overflow 0
		.amdhsa_workgroup_processor_mode 1
		.amdhsa_memory_ordered 1
		.amdhsa_forward_progress 0
		.amdhsa_shared_vgpr_count 0
		.amdhsa_exception_fp_ieee_invalid_op 0
		.amdhsa_exception_fp_denorm_src 0
		.amdhsa_exception_fp_ieee_div_zero 0
		.amdhsa_exception_fp_ieee_overflow 0
		.amdhsa_exception_fp_ieee_underflow 0
		.amdhsa_exception_fp_ieee_inexact 0
		.amdhsa_exception_int_div_zero 0
	.end_amdhsa_kernel
	.section	.text._ZL19rocblas_axpy_kernelIiLi256EffPKPK16rocblas_bfloat16PKPS0_EviT2_lT3_lT_lT4_lSA_li,"axG",@progbits,_ZL19rocblas_axpy_kernelIiLi256EffPKPK16rocblas_bfloat16PKPS0_EviT2_lT3_lT_lT4_lSA_li,comdat
.Lfunc_end179:
	.size	_ZL19rocblas_axpy_kernelIiLi256EffPKPK16rocblas_bfloat16PKPS0_EviT2_lT3_lT_lT4_lSA_li, .Lfunc_end179-_ZL19rocblas_axpy_kernelIiLi256EffPKPK16rocblas_bfloat16PKPS0_EviT2_lT3_lT_lT4_lSA_li
                                        ; -- End function
	.section	.AMDGPU.csdata,"",@progbits
; Kernel info:
; codeLenInByte = 536
; NumSgprs: 19
; NumVgprs: 7
; ScratchSize: 0
; MemoryBound: 0
; FloatMode: 240
; IeeeMode: 1
; LDSByteSize: 0 bytes/workgroup (compile time only)
; SGPRBlocks: 2
; VGPRBlocks: 0
; NumSGPRsForWavesPerEU: 19
; NumVGPRsForWavesPerEU: 7
; Occupancy: 16
; WaveLimiterHint : 1
; COMPUTE_PGM_RSRC2:SCRATCH_EN: 0
; COMPUTE_PGM_RSRC2:USER_SGPR: 14
; COMPUTE_PGM_RSRC2:TRAP_HANDLER: 0
; COMPUTE_PGM_RSRC2:TGID_X_EN: 1
; COMPUTE_PGM_RSRC2:TGID_Y_EN: 0
; COMPUTE_PGM_RSRC2:TGID_Z_EN: 1
; COMPUTE_PGM_RSRC2:TIDIG_COMP_CNT: 0
	.section	.text._ZL19rocblas_axpy_kernelIlLi256EfPKfPKPK16rocblas_bfloat16PKPS2_EviT2_lT3_lT_lT4_lSC_li,"axG",@progbits,_ZL19rocblas_axpy_kernelIlLi256EfPKfPKPK16rocblas_bfloat16PKPS2_EviT2_lT3_lT_lT4_lSC_li,comdat
	.globl	_ZL19rocblas_axpy_kernelIlLi256EfPKfPKPK16rocblas_bfloat16PKPS2_EviT2_lT3_lT_lT4_lSC_li ; -- Begin function _ZL19rocblas_axpy_kernelIlLi256EfPKfPKPK16rocblas_bfloat16PKPS2_EviT2_lT3_lT_lT4_lSC_li
	.p2align	8
	.type	_ZL19rocblas_axpy_kernelIlLi256EfPKfPKPK16rocblas_bfloat16PKPS2_EviT2_lT3_lT_lT4_lSC_li,@function
_ZL19rocblas_axpy_kernelIlLi256EfPKfPKPK16rocblas_bfloat16PKPS2_EviT2_lT3_lT_lT4_lSC_li: ; @_ZL19rocblas_axpy_kernelIlLi256EfPKfPKPK16rocblas_bfloat16PKPS2_EviT2_lT3_lT_lT4_lSC_li
; %bb.0:
	s_clause 0x1
	s_load_b128 s[4:7], s[0:1], 0x8
	s_load_b32 s10, s[0:1], 0x0
	v_lshl_or_b32 v0, s14, 8, v0
	v_mov_b32_e32 v1, 0
	s_waitcnt lgkmcnt(0)
	s_mul_i32 s3, s15, s7
	s_mul_hi_u32 s7, s15, s6
	s_mul_i32 s6, s15, s6
	s_add_i32 s7, s7, s3
	s_ashr_i32 s11, s10, 31
	s_lshl_b64 s[6:7], s[6:7], 2
	v_cmp_gt_i64_e32 vcc_lo, s[10:11], v[0:1]
	s_add_u32 s4, s4, s6
	s_addc_u32 s5, s5, s7
	s_mov_b32 s3, 0
	s_load_b32 s8, s[4:5], 0x0
	s_waitcnt lgkmcnt(0)
	v_cmp_neq_f32_e64 s4, s8, 0
	s_delay_alu instid0(VALU_DEP_1) | instskip(NEXT) | instid1(SALU_CYCLE_1)
	s_and_b32 s4, vcc_lo, s4
	s_and_saveexec_b32 s5, s4
	s_cbranch_execz .LBB180_10
; %bb.1:
	s_mov_b32 s2, s15
	s_clause 0x2
	s_load_b128 s[12:15], s[0:1], 0x20
	s_load_b64 s[10:11], s[0:1], 0x18
	s_load_b128 s[4:7], s[0:1], 0x40
	s_lshl_b64 s[2:3], s[2:3], 3
	s_waitcnt lgkmcnt(0)
	v_mad_u64_u32 v[1:2], null, v0, s14, 0
	s_add_u32 s10, s10, s2
	s_addc_u32 s11, s11, s3
	s_load_b64 s[10:11], s[10:11], 0x0
	s_load_b64 s[0:1], s[0:1], 0x38
	s_lshl_b64 s[12:13], s[12:13], 1
	s_delay_alu instid0(VALU_DEP_1) | instskip(SKIP_1) | instid1(VALU_DEP_1)
	v_mad_u64_u32 v[3:4], null, v0, s15, v[2:3]
	v_mad_u64_u32 v[4:5], null, v0, s6, 0
	v_dual_mov_b32 v2, v3 :: v_dual_mov_b32 v3, v5
	s_delay_alu instid0(VALU_DEP_1) | instskip(NEXT) | instid1(VALU_DEP_2)
	v_lshlrev_b64 v[1:2], 1, v[1:2]
	v_mad_u64_u32 v[5:6], null, v0, s7, v[3:4]
	s_waitcnt lgkmcnt(0)
	s_add_u32 s6, s12, s10
	s_addc_u32 s9, s13, s11
	s_add_u32 s0, s0, s2
	s_addc_u32 s1, s1, s3
	v_add_co_u32 v0, vcc_lo, s6, v1
	s_load_b64 s[0:1], s[0:1], 0x0
	v_add_co_ci_u32_e32 v1, vcc_lo, s9, v2, vcc_lo
	s_lshl_b64 s[2:3], s[4:5], 1
	global_load_u16 v3, v[0:1], off
	v_lshlrev_b64 v[0:1], 1, v[4:5]
	s_waitcnt lgkmcnt(0)
	s_add_u32 s0, s2, s0
	s_addc_u32 s1, s3, s1
	s_delay_alu instid0(VALU_DEP_1) | instskip(NEXT) | instid1(VALU_DEP_2)
	v_add_co_u32 v0, vcc_lo, s0, v0
	v_add_co_ci_u32_e32 v1, vcc_lo, s1, v1, vcc_lo
	global_load_u16 v2, v[0:1], off
	s_waitcnt vmcnt(1)
	v_lshlrev_b32_e32 v3, 16, v3
	s_delay_alu instid0(VALU_DEP_1) | instskip(NEXT) | instid1(VALU_DEP_1)
	v_mul_f32_e32 v3, s8, v3
	v_and_b32_e32 v4, 0x7f800000, v3
	s_delay_alu instid0(VALU_DEP_1) | instskip(SKIP_1) | instid1(SALU_CYCLE_1)
	v_cmp_ne_u32_e32 vcc_lo, 0x7f800000, v4
                                        ; implicit-def: $vgpr4
	s_and_saveexec_b32 s0, vcc_lo
	s_xor_b32 s0, exec_lo, s0
; %bb.2:
	v_bfe_u32 v4, v3, 16, 1
	s_delay_alu instid0(VALU_DEP_1)
	v_add3_u32 v4, v3, v4, 0x7fff
                                        ; implicit-def: $vgpr3
; %bb.3:
	s_and_not1_saveexec_b32 s0, s0
; %bb.4:
	v_and_b32_e32 v4, 0xffff, v3
	v_or_b32_e32 v5, 0x10000, v3
	s_delay_alu instid0(VALU_DEP_2) | instskip(NEXT) | instid1(VALU_DEP_2)
	v_cmp_eq_u32_e32 vcc_lo, 0, v4
	v_cndmask_b32_e32 v4, v5, v3, vcc_lo
; %bb.5:
	s_or_b32 exec_lo, exec_lo, s0
	s_delay_alu instid0(VALU_DEP_1) | instskip(SKIP_2) | instid1(VALU_DEP_1)
	v_and_b32_e32 v3, 0xffff0000, v4
	s_waitcnt vmcnt(0)
	v_lshlrev_b32_e32 v2, 16, v2
	v_add_f32_e32 v2, v2, v3
	s_delay_alu instid0(VALU_DEP_1) | instskip(NEXT) | instid1(VALU_DEP_1)
	v_and_b32_e32 v3, 0x7f800000, v2
	v_cmp_ne_u32_e32 vcc_lo, 0x7f800000, v3
                                        ; implicit-def: $vgpr3
	s_and_saveexec_b32 s0, vcc_lo
	s_delay_alu instid0(SALU_CYCLE_1)
	s_xor_b32 s0, exec_lo, s0
; %bb.6:
	v_bfe_u32 v3, v2, 16, 1
	s_delay_alu instid0(VALU_DEP_1)
	v_add3_u32 v3, v2, v3, 0x7fff
                                        ; implicit-def: $vgpr2
; %bb.7:
	s_and_not1_saveexec_b32 s0, s0
; %bb.8:
	v_and_b32_e32 v3, 0xffff, v2
	v_or_b32_e32 v4, 0x10000, v2
	s_delay_alu instid0(VALU_DEP_2) | instskip(NEXT) | instid1(VALU_DEP_2)
	v_cmp_eq_u32_e32 vcc_lo, 0, v3
	v_cndmask_b32_e32 v3, v4, v2, vcc_lo
; %bb.9:
	s_or_b32 exec_lo, exec_lo, s0
	global_store_d16_hi_b16 v[0:1], v3, off
.LBB180_10:
	s_nop 0
	s_sendmsg sendmsg(MSG_DEALLOC_VGPRS)
	s_endpgm
	.section	.rodata,"a",@progbits
	.p2align	6, 0x0
	.amdhsa_kernel _ZL19rocblas_axpy_kernelIlLi256EfPKfPKPK16rocblas_bfloat16PKPS2_EviT2_lT3_lT_lT4_lSC_li
		.amdhsa_group_segment_fixed_size 0
		.amdhsa_private_segment_fixed_size 0
		.amdhsa_kernarg_size 92
		.amdhsa_user_sgpr_count 14
		.amdhsa_user_sgpr_dispatch_ptr 0
		.amdhsa_user_sgpr_queue_ptr 0
		.amdhsa_user_sgpr_kernarg_segment_ptr 1
		.amdhsa_user_sgpr_dispatch_id 0
		.amdhsa_user_sgpr_private_segment_size 0
		.amdhsa_wavefront_size32 1
		.amdhsa_uses_dynamic_stack 0
		.amdhsa_enable_private_segment 0
		.amdhsa_system_sgpr_workgroup_id_x 1
		.amdhsa_system_sgpr_workgroup_id_y 0
		.amdhsa_system_sgpr_workgroup_id_z 1
		.amdhsa_system_sgpr_workgroup_info 0
		.amdhsa_system_vgpr_workitem_id 0
		.amdhsa_next_free_vgpr 7
		.amdhsa_next_free_sgpr 16
		.amdhsa_reserve_vcc 1
		.amdhsa_float_round_mode_32 0
		.amdhsa_float_round_mode_16_64 0
		.amdhsa_float_denorm_mode_32 3
		.amdhsa_float_denorm_mode_16_64 3
		.amdhsa_dx10_clamp 1
		.amdhsa_ieee_mode 1
		.amdhsa_fp16_overflow 0
		.amdhsa_workgroup_processor_mode 1
		.amdhsa_memory_ordered 1
		.amdhsa_forward_progress 0
		.amdhsa_shared_vgpr_count 0
		.amdhsa_exception_fp_ieee_invalid_op 0
		.amdhsa_exception_fp_denorm_src 0
		.amdhsa_exception_fp_ieee_div_zero 0
		.amdhsa_exception_fp_ieee_overflow 0
		.amdhsa_exception_fp_ieee_underflow 0
		.amdhsa_exception_fp_ieee_inexact 0
		.amdhsa_exception_int_div_zero 0
	.end_amdhsa_kernel
	.section	.text._ZL19rocblas_axpy_kernelIlLi256EfPKfPKPK16rocblas_bfloat16PKPS2_EviT2_lT3_lT_lT4_lSC_li,"axG",@progbits,_ZL19rocblas_axpy_kernelIlLi256EfPKfPKPK16rocblas_bfloat16PKPS2_EviT2_lT3_lT_lT4_lSC_li,comdat
.Lfunc_end180:
	.size	_ZL19rocblas_axpy_kernelIlLi256EfPKfPKPK16rocblas_bfloat16PKPS2_EviT2_lT3_lT_lT4_lSC_li, .Lfunc_end180-_ZL19rocblas_axpy_kernelIlLi256EfPKfPKPK16rocblas_bfloat16PKPS2_EviT2_lT3_lT_lT4_lSC_li
                                        ; -- End function
	.section	.AMDGPU.csdata,"",@progbits
; Kernel info:
; codeLenInByte = 572
; NumSgprs: 18
; NumVgprs: 7
; ScratchSize: 0
; MemoryBound: 0
; FloatMode: 240
; IeeeMode: 1
; LDSByteSize: 0 bytes/workgroup (compile time only)
; SGPRBlocks: 2
; VGPRBlocks: 0
; NumSGPRsForWavesPerEU: 18
; NumVGPRsForWavesPerEU: 7
; Occupancy: 16
; WaveLimiterHint : 1
; COMPUTE_PGM_RSRC2:SCRATCH_EN: 0
; COMPUTE_PGM_RSRC2:USER_SGPR: 14
; COMPUTE_PGM_RSRC2:TRAP_HANDLER: 0
; COMPUTE_PGM_RSRC2:TGID_X_EN: 1
; COMPUTE_PGM_RSRC2:TGID_Y_EN: 0
; COMPUTE_PGM_RSRC2:TGID_Z_EN: 1
; COMPUTE_PGM_RSRC2:TIDIG_COMP_CNT: 0
	.section	.text._ZL19rocblas_axpy_kernelIlLi256EffPKPK16rocblas_bfloat16PKPS0_EviT2_lT3_lT_lT4_lSA_li,"axG",@progbits,_ZL19rocblas_axpy_kernelIlLi256EffPKPK16rocblas_bfloat16PKPS0_EviT2_lT3_lT_lT4_lSA_li,comdat
	.globl	_ZL19rocblas_axpy_kernelIlLi256EffPKPK16rocblas_bfloat16PKPS0_EviT2_lT3_lT_lT4_lSA_li ; -- Begin function _ZL19rocblas_axpy_kernelIlLi256EffPKPK16rocblas_bfloat16PKPS0_EviT2_lT3_lT_lT4_lSA_li
	.p2align	8
	.type	_ZL19rocblas_axpy_kernelIlLi256EffPKPK16rocblas_bfloat16PKPS0_EviT2_lT3_lT_lT4_lSA_li,@function
_ZL19rocblas_axpy_kernelIlLi256EffPKPK16rocblas_bfloat16PKPS0_EviT2_lT3_lT_lT4_lSA_li: ; @_ZL19rocblas_axpy_kernelIlLi256EffPKPK16rocblas_bfloat16PKPS0_EviT2_lT3_lT_lT4_lSA_li
; %bb.0:
	s_load_b64 s[2:3], s[0:1], 0x0
	v_mov_b32_e32 v1, 0
	v_lshl_or_b32 v0, s14, 8, v0
	s_mov_b32 s9, 0
	s_waitcnt lgkmcnt(0)
	s_ashr_i32 s5, s2, 31
	s_mov_b32 s4, s2
	v_cmp_neq_f32_e64 s2, s3, 0
	v_cmp_gt_i64_e32 vcc_lo, s[4:5], v[0:1]
	s_delay_alu instid0(VALU_DEP_2) | instskip(NEXT) | instid1(SALU_CYCLE_1)
	s_and_b32 s2, s2, vcc_lo
	s_and_saveexec_b32 s4, s2
	s_cbranch_execz .LBB181_10
; %bb.1:
	s_mov_b32 s8, s15
	s_clause 0x2
	s_load_b128 s[12:15], s[0:1], 0x18
	s_load_b64 s[10:11], s[0:1], 0x10
	s_load_b128 s[4:7], s[0:1], 0x38
	s_lshl_b64 s[8:9], s[8:9], 3
	s_waitcnt lgkmcnt(0)
	v_mad_u64_u32 v[1:2], null, v0, s14, 0
	s_add_u32 s10, s10, s8
	s_addc_u32 s11, s11, s9
	s_load_b64 s[10:11], s[10:11], 0x0
	s_load_b64 s[0:1], s[0:1], 0x30
	s_lshl_b64 s[12:13], s[12:13], 1
	s_delay_alu instid0(VALU_DEP_1) | instskip(SKIP_1) | instid1(VALU_DEP_1)
	v_mad_u64_u32 v[3:4], null, v0, s15, v[2:3]
	v_mad_u64_u32 v[4:5], null, v0, s6, 0
	v_dual_mov_b32 v2, v3 :: v_dual_mov_b32 v3, v5
	s_delay_alu instid0(VALU_DEP_1) | instskip(NEXT) | instid1(VALU_DEP_2)
	v_lshlrev_b64 v[1:2], 1, v[1:2]
	v_mad_u64_u32 v[5:6], null, v0, s7, v[3:4]
	s_waitcnt lgkmcnt(0)
	s_add_u32 s2, s12, s10
	s_addc_u32 s6, s13, s11
	s_add_u32 s0, s0, s8
	s_addc_u32 s1, s1, s9
	v_add_co_u32 v0, vcc_lo, s2, v1
	s_load_b64 s[0:1], s[0:1], 0x0
	v_add_co_ci_u32_e32 v1, vcc_lo, s6, v2, vcc_lo
	s_lshl_b64 s[4:5], s[4:5], 1
	global_load_u16 v3, v[0:1], off
	v_lshlrev_b64 v[0:1], 1, v[4:5]
	s_waitcnt lgkmcnt(0)
	s_add_u32 s0, s4, s0
	s_addc_u32 s1, s5, s1
	s_delay_alu instid0(VALU_DEP_1) | instskip(NEXT) | instid1(VALU_DEP_2)
	v_add_co_u32 v0, vcc_lo, s0, v0
	v_add_co_ci_u32_e32 v1, vcc_lo, s1, v1, vcc_lo
	global_load_u16 v2, v[0:1], off
	s_waitcnt vmcnt(1)
	v_lshlrev_b32_e32 v3, 16, v3
	s_delay_alu instid0(VALU_DEP_1) | instskip(NEXT) | instid1(VALU_DEP_1)
	v_mul_f32_e32 v3, s3, v3
	v_and_b32_e32 v4, 0x7f800000, v3
	s_delay_alu instid0(VALU_DEP_1) | instskip(SKIP_1) | instid1(SALU_CYCLE_1)
	v_cmp_ne_u32_e32 vcc_lo, 0x7f800000, v4
                                        ; implicit-def: $vgpr4
	s_and_saveexec_b32 s0, vcc_lo
	s_xor_b32 s0, exec_lo, s0
; %bb.2:
	v_bfe_u32 v4, v3, 16, 1
	s_delay_alu instid0(VALU_DEP_1)
	v_add3_u32 v4, v3, v4, 0x7fff
                                        ; implicit-def: $vgpr3
; %bb.3:
	s_and_not1_saveexec_b32 s0, s0
; %bb.4:
	v_and_b32_e32 v4, 0xffff, v3
	v_or_b32_e32 v5, 0x10000, v3
	s_delay_alu instid0(VALU_DEP_2) | instskip(NEXT) | instid1(VALU_DEP_2)
	v_cmp_eq_u32_e32 vcc_lo, 0, v4
	v_cndmask_b32_e32 v4, v5, v3, vcc_lo
; %bb.5:
	s_or_b32 exec_lo, exec_lo, s0
	s_delay_alu instid0(VALU_DEP_1) | instskip(SKIP_2) | instid1(VALU_DEP_1)
	v_and_b32_e32 v3, 0xffff0000, v4
	s_waitcnt vmcnt(0)
	v_lshlrev_b32_e32 v2, 16, v2
	v_add_f32_e32 v2, v2, v3
	s_delay_alu instid0(VALU_DEP_1) | instskip(NEXT) | instid1(VALU_DEP_1)
	v_and_b32_e32 v3, 0x7f800000, v2
	v_cmp_ne_u32_e32 vcc_lo, 0x7f800000, v3
                                        ; implicit-def: $vgpr3
	s_and_saveexec_b32 s0, vcc_lo
	s_delay_alu instid0(SALU_CYCLE_1)
	s_xor_b32 s0, exec_lo, s0
; %bb.6:
	v_bfe_u32 v3, v2, 16, 1
	s_delay_alu instid0(VALU_DEP_1)
	v_add3_u32 v3, v2, v3, 0x7fff
                                        ; implicit-def: $vgpr2
; %bb.7:
	s_and_not1_saveexec_b32 s0, s0
; %bb.8:
	v_and_b32_e32 v3, 0xffff, v2
	v_or_b32_e32 v4, 0x10000, v2
	s_delay_alu instid0(VALU_DEP_2) | instskip(NEXT) | instid1(VALU_DEP_2)
	v_cmp_eq_u32_e32 vcc_lo, 0, v3
	v_cndmask_b32_e32 v3, v4, v2, vcc_lo
; %bb.9:
	s_or_b32 exec_lo, exec_lo, s0
	global_store_d16_hi_b16 v[0:1], v3, off
.LBB181_10:
	s_nop 0
	s_sendmsg sendmsg(MSG_DEALLOC_VGPRS)
	s_endpgm
	.section	.rodata,"a",@progbits
	.p2align	6, 0x0
	.amdhsa_kernel _ZL19rocblas_axpy_kernelIlLi256EffPKPK16rocblas_bfloat16PKPS0_EviT2_lT3_lT_lT4_lSA_li
		.amdhsa_group_segment_fixed_size 0
		.amdhsa_private_segment_fixed_size 0
		.amdhsa_kernarg_size 84
		.amdhsa_user_sgpr_count 14
		.amdhsa_user_sgpr_dispatch_ptr 0
		.amdhsa_user_sgpr_queue_ptr 0
		.amdhsa_user_sgpr_kernarg_segment_ptr 1
		.amdhsa_user_sgpr_dispatch_id 0
		.amdhsa_user_sgpr_private_segment_size 0
		.amdhsa_wavefront_size32 1
		.amdhsa_uses_dynamic_stack 0
		.amdhsa_enable_private_segment 0
		.amdhsa_system_sgpr_workgroup_id_x 1
		.amdhsa_system_sgpr_workgroup_id_y 0
		.amdhsa_system_sgpr_workgroup_id_z 1
		.amdhsa_system_sgpr_workgroup_info 0
		.amdhsa_system_vgpr_workitem_id 0
		.amdhsa_next_free_vgpr 7
		.amdhsa_next_free_sgpr 16
		.amdhsa_reserve_vcc 1
		.amdhsa_float_round_mode_32 0
		.amdhsa_float_round_mode_16_64 0
		.amdhsa_float_denorm_mode_32 3
		.amdhsa_float_denorm_mode_16_64 3
		.amdhsa_dx10_clamp 1
		.amdhsa_ieee_mode 1
		.amdhsa_fp16_overflow 0
		.amdhsa_workgroup_processor_mode 1
		.amdhsa_memory_ordered 1
		.amdhsa_forward_progress 0
		.amdhsa_shared_vgpr_count 0
		.amdhsa_exception_fp_ieee_invalid_op 0
		.amdhsa_exception_fp_denorm_src 0
		.amdhsa_exception_fp_ieee_div_zero 0
		.amdhsa_exception_fp_ieee_overflow 0
		.amdhsa_exception_fp_ieee_underflow 0
		.amdhsa_exception_fp_ieee_inexact 0
		.amdhsa_exception_int_div_zero 0
	.end_amdhsa_kernel
	.section	.text._ZL19rocblas_axpy_kernelIlLi256EffPKPK16rocblas_bfloat16PKPS0_EviT2_lT3_lT_lT4_lSA_li,"axG",@progbits,_ZL19rocblas_axpy_kernelIlLi256EffPKPK16rocblas_bfloat16PKPS0_EviT2_lT3_lT_lT4_lSA_li,comdat
.Lfunc_end181:
	.size	_ZL19rocblas_axpy_kernelIlLi256EffPKPK16rocblas_bfloat16PKPS0_EviT2_lT3_lT_lT4_lSA_li, .Lfunc_end181-_ZL19rocblas_axpy_kernelIlLi256EffPKPK16rocblas_bfloat16PKPS0_EviT2_lT3_lT_lT4_lSA_li
                                        ; -- End function
	.section	.AMDGPU.csdata,"",@progbits
; Kernel info:
; codeLenInByte = 524
; NumSgprs: 18
; NumVgprs: 7
; ScratchSize: 0
; MemoryBound: 0
; FloatMode: 240
; IeeeMode: 1
; LDSByteSize: 0 bytes/workgroup (compile time only)
; SGPRBlocks: 2
; VGPRBlocks: 0
; NumSGPRsForWavesPerEU: 18
; NumVGPRsForWavesPerEU: 7
; Occupancy: 16
; WaveLimiterHint : 1
; COMPUTE_PGM_RSRC2:SCRATCH_EN: 0
; COMPUTE_PGM_RSRC2:USER_SGPR: 14
; COMPUTE_PGM_RSRC2:TRAP_HANDLER: 0
; COMPUTE_PGM_RSRC2:TGID_X_EN: 1
; COMPUTE_PGM_RSRC2:TGID_Y_EN: 0
; COMPUTE_PGM_RSRC2:TGID_Z_EN: 1
; COMPUTE_PGM_RSRC2:TIDIG_COMP_CNT: 0
	.section	.text._ZL22rocblas_saxpy_2_kernelILi256EfPKDF16_PKS1_PKPDF16_EviT1_lT2_llT3_lli,"axG",@progbits,_ZL22rocblas_saxpy_2_kernelILi256EfPKDF16_PKS1_PKPDF16_EviT1_lT2_llT3_lli,comdat
	.globl	_ZL22rocblas_saxpy_2_kernelILi256EfPKDF16_PKS1_PKPDF16_EviT1_lT2_llT3_lli ; -- Begin function _ZL22rocblas_saxpy_2_kernelILi256EfPKDF16_PKS1_PKPDF16_EviT1_lT2_llT3_lli
	.p2align	8
	.type	_ZL22rocblas_saxpy_2_kernelILi256EfPKDF16_PKS1_PKPDF16_EviT1_lT2_llT3_lli,@function
_ZL22rocblas_saxpy_2_kernelILi256EfPKDF16_PKS1_PKPDF16_EviT1_lT2_llT3_lli: ; @_ZL22rocblas_saxpy_2_kernelILi256EfPKDF16_PKS1_PKPDF16_EviT1_lT2_llT3_lli
; %bb.0:
	s_load_b128 s[4:7], s[0:1], 0x8
	v_mov_b32_e32 v1, 0
	s_waitcnt lgkmcnt(0)
	s_mul_i32 s3, s15, s7
	s_mul_hi_u32 s7, s15, s6
	s_mul_i32 s6, s15, s6
	s_add_i32 s7, s7, s3
	s_mov_b32 s3, 0
	s_lshl_b64 s[6:7], s[6:7], 1
	s_delay_alu instid0(SALU_CYCLE_1)
	s_add_u32 s4, s4, s6
	s_addc_u32 s5, s5, s7
	global_load_u16 v4, v1, s[4:5]
	s_waitcnt vmcnt(0)
	v_cmp_eq_f16_e32 vcc_lo, 0, v4
	s_cbranch_vccnz .LBB182_5
; %bb.1:
	s_clause 0x1
	s_load_b128 s[8:11], s[0:1], 0x18
	s_load_b32 s4, s[0:1], 0x0
	s_mov_b32 s2, s15
	v_lshlrev_b32_e32 v0, 1, v0
	s_lshl_b64 s[6:7], s[2:3], 3
	s_delay_alu instid0(VALU_DEP_1) | instskip(NEXT) | instid1(VALU_DEP_1)
	v_lshl_or_b32 v0, s14, 9, v0
	v_lshlrev_b64 v[2:3], 1, v[0:1]
	s_waitcnt lgkmcnt(0)
	s_add_u32 s2, s8, s6
	s_addc_u32 s3, s9, s7
	s_load_b64 s[2:3], s[2:3], 0x0
	s_load_b128 s[16:19], s[0:1], 0x30
	s_lshl_b64 s[0:1], s[10:11], 1
	s_waitcnt lgkmcnt(0)
	s_add_u32 s2, s2, s0
	s_addc_u32 s3, s3, s1
	s_add_u32 s0, s16, s6
	s_addc_u32 s1, s17, s7
	s_lshl_b64 s[6:7], s[18:19], 1
	s_load_b64 s[0:1], s[0:1], 0x0
	s_waitcnt lgkmcnt(0)
	s_add_u32 s5, s0, s6
	s_addc_u32 s6, s1, s7
	s_add_i32 s0, s4, -1
	s_mov_b32 s7, exec_lo
	s_ashr_i32 s1, s0, 31
	s_delay_alu instid0(SALU_CYCLE_1)
	v_cmpx_gt_i64_e64 s[0:1], v[0:1]
	s_cbranch_execz .LBB182_3
; %bb.2:
	v_add_co_u32 v5, vcc_lo, s5, v2
	v_add_co_ci_u32_e32 v6, vcc_lo, s6, v3, vcc_lo
	v_add_co_u32 v7, vcc_lo, s2, v2
	v_add_co_ci_u32_e32 v8, vcc_lo, s3, v3, vcc_lo
	global_load_b32 v9, v[5:6], off
	global_load_u16 v10, v[7:8], off
	s_waitcnt vmcnt(0)
	v_fma_mixlo_f16 v10, v4, v10, v9 op_sel_hi:[1,1,1]
	global_store_b16 v[5:6], v10, off
	global_load_u16 v7, v[7:8], off offset:2
	s_waitcnt vmcnt(0)
	v_fma_mixlo_f16 v7, v4, v7, v9 op_sel:[0,0,1] op_sel_hi:[1,1,1]
	global_store_b16 v[5:6], v7, off offset:2
.LBB182_3:
	s_or_b32 exec_lo, exec_lo, s7
	v_cmp_eq_u64_e32 vcc_lo, s[0:1], v[0:1]
	s_bitcmp1_b32 s4, 0
	s_cselect_b32 s0, -1, 0
	s_delay_alu instid0(SALU_CYCLE_1) | instskip(NEXT) | instid1(SALU_CYCLE_1)
	s_and_b32 s0, s0, vcc_lo
	s_and_saveexec_b32 s1, s0
	s_cbranch_execz .LBB182_5
; %bb.4:
	v_add_co_u32 v0, vcc_lo, s5, v2
	v_add_co_ci_u32_e32 v1, vcc_lo, s6, v3, vcc_lo
	v_add_co_u32 v2, vcc_lo, s2, v2
	v_add_co_ci_u32_e32 v3, vcc_lo, s3, v3, vcc_lo
	global_load_u16 v5, v[0:1], off
	global_load_u16 v2, v[2:3], off
	s_waitcnt vmcnt(0)
	v_fma_mixlo_f16 v2, v4, v2, v5 op_sel_hi:[1,1,1]
	global_store_b16 v[0:1], v2, off
.LBB182_5:
	s_nop 0
	s_sendmsg sendmsg(MSG_DEALLOC_VGPRS)
	s_endpgm
	.section	.rodata,"a",@progbits
	.p2align	6, 0x0
	.amdhsa_kernel _ZL22rocblas_saxpy_2_kernelILi256EfPKDF16_PKS1_PKPDF16_EviT1_lT2_llT3_lli
		.amdhsa_group_segment_fixed_size 0
		.amdhsa_private_segment_fixed_size 0
		.amdhsa_kernarg_size 76
		.amdhsa_user_sgpr_count 14
		.amdhsa_user_sgpr_dispatch_ptr 0
		.amdhsa_user_sgpr_queue_ptr 0
		.amdhsa_user_sgpr_kernarg_segment_ptr 1
		.amdhsa_user_sgpr_dispatch_id 0
		.amdhsa_user_sgpr_private_segment_size 0
		.amdhsa_wavefront_size32 1
		.amdhsa_uses_dynamic_stack 0
		.amdhsa_enable_private_segment 0
		.amdhsa_system_sgpr_workgroup_id_x 1
		.amdhsa_system_sgpr_workgroup_id_y 0
		.amdhsa_system_sgpr_workgroup_id_z 1
		.amdhsa_system_sgpr_workgroup_info 0
		.amdhsa_system_vgpr_workitem_id 0
		.amdhsa_next_free_vgpr 11
		.amdhsa_next_free_sgpr 20
		.amdhsa_reserve_vcc 1
		.amdhsa_float_round_mode_32 0
		.amdhsa_float_round_mode_16_64 0
		.amdhsa_float_denorm_mode_32 3
		.amdhsa_float_denorm_mode_16_64 3
		.amdhsa_dx10_clamp 1
		.amdhsa_ieee_mode 1
		.amdhsa_fp16_overflow 0
		.amdhsa_workgroup_processor_mode 1
		.amdhsa_memory_ordered 1
		.amdhsa_forward_progress 0
		.amdhsa_shared_vgpr_count 0
		.amdhsa_exception_fp_ieee_invalid_op 0
		.amdhsa_exception_fp_denorm_src 0
		.amdhsa_exception_fp_ieee_div_zero 0
		.amdhsa_exception_fp_ieee_overflow 0
		.amdhsa_exception_fp_ieee_underflow 0
		.amdhsa_exception_fp_ieee_inexact 0
		.amdhsa_exception_int_div_zero 0
	.end_amdhsa_kernel
	.section	.text._ZL22rocblas_saxpy_2_kernelILi256EfPKDF16_PKS1_PKPDF16_EviT1_lT2_llT3_lli,"axG",@progbits,_ZL22rocblas_saxpy_2_kernelILi256EfPKDF16_PKS1_PKPDF16_EviT1_lT2_llT3_lli,comdat
.Lfunc_end182:
	.size	_ZL22rocblas_saxpy_2_kernelILi256EfPKDF16_PKS1_PKPDF16_EviT1_lT2_llT3_lli, .Lfunc_end182-_ZL22rocblas_saxpy_2_kernelILi256EfPKDF16_PKS1_PKPDF16_EviT1_lT2_llT3_lli
                                        ; -- End function
	.section	.AMDGPU.csdata,"",@progbits
; Kernel info:
; codeLenInByte = 420
; NumSgprs: 22
; NumVgprs: 11
; ScratchSize: 0
; MemoryBound: 0
; FloatMode: 240
; IeeeMode: 1
; LDSByteSize: 0 bytes/workgroup (compile time only)
; SGPRBlocks: 2
; VGPRBlocks: 1
; NumSGPRsForWavesPerEU: 22
; NumVGPRsForWavesPerEU: 11
; Occupancy: 16
; WaveLimiterHint : 1
; COMPUTE_PGM_RSRC2:SCRATCH_EN: 0
; COMPUTE_PGM_RSRC2:USER_SGPR: 14
; COMPUTE_PGM_RSRC2:TRAP_HANDLER: 0
; COMPUTE_PGM_RSRC2:TGID_X_EN: 1
; COMPUTE_PGM_RSRC2:TGID_Y_EN: 0
; COMPUTE_PGM_RSRC2:TGID_Z_EN: 1
; COMPUTE_PGM_RSRC2:TIDIG_COMP_CNT: 0
	.section	.text._ZL22rocblas_saxpy_2_kernelILi256EfDF16_PKPKDF16_PKPDF16_EviT1_lT2_llT3_lli,"axG",@progbits,_ZL22rocblas_saxpy_2_kernelILi256EfDF16_PKPKDF16_PKPDF16_EviT1_lT2_llT3_lli,comdat
	.globl	_ZL22rocblas_saxpy_2_kernelILi256EfDF16_PKPKDF16_PKPDF16_EviT1_lT2_llT3_lli ; -- Begin function _ZL22rocblas_saxpy_2_kernelILi256EfDF16_PKPKDF16_PKPDF16_EviT1_lT2_llT3_lli
	.p2align	8
	.type	_ZL22rocblas_saxpy_2_kernelILi256EfDF16_PKPKDF16_PKPDF16_EviT1_lT2_llT3_lli,@function
_ZL22rocblas_saxpy_2_kernelILi256EfDF16_PKPKDF16_PKPDF16_EviT1_lT2_llT3_lli: ; @_ZL22rocblas_saxpy_2_kernelILi256EfDF16_PKPKDF16_PKPDF16_EviT1_lT2_llT3_lli
; %bb.0:
	s_load_b64 s[2:3], s[0:1], 0x0
	s_waitcnt lgkmcnt(0)
	v_cmp_eq_f16_e64 s5, s3, 0
	s_delay_alu instid0(VALU_DEP_1)
	s_and_b32 vcc_lo, exec_lo, s5
	s_mov_b32 s5, 0
	s_cbranch_vccnz .LBB183_5
; %bb.1:
	s_clause 0x1
	s_load_b128 s[8:11], s[0:1], 0x10
	s_load_b128 s[16:19], s[0:1], 0x28
	s_mov_b32 s4, s15
	v_dual_mov_b32 v3, 0 :: v_dual_lshlrev_b32 v0, 1, v0
	s_lshl_b64 s[6:7], s[4:5], 3
	s_delay_alu instid0(VALU_DEP_1) | instskip(NEXT) | instid1(VALU_DEP_1)
	v_lshl_or_b32 v2, s14, 9, v0
	v_lshlrev_b64 v[0:1], 1, v[2:3]
	s_waitcnt lgkmcnt(0)
	s_add_u32 s0, s8, s6
	s_addc_u32 s1, s9, s7
	s_lshl_b64 s[4:5], s[10:11], 1
	s_load_b64 s[0:1], s[0:1], 0x0
	s_mov_b32 s8, exec_lo
	s_waitcnt lgkmcnt(0)
	s_add_u32 s4, s0, s4
	s_addc_u32 s5, s1, s5
	s_add_u32 s0, s16, s6
	s_addc_u32 s1, s17, s7
	s_lshl_b64 s[6:7], s[18:19], 1
	s_load_b64 s[0:1], s[0:1], 0x0
	s_waitcnt lgkmcnt(0)
	s_add_u32 s6, s0, s6
	s_addc_u32 s7, s1, s7
	s_add_i32 s0, s2, -1
	s_delay_alu instid0(SALU_CYCLE_1) | instskip(NEXT) | instid1(SALU_CYCLE_1)
	s_ashr_i32 s1, s0, 31
	v_cmpx_gt_i64_e64 s[0:1], v[2:3]
	s_cbranch_execz .LBB183_3
; %bb.2:
	v_add_co_u32 v4, vcc_lo, s6, v0
	v_add_co_ci_u32_e32 v5, vcc_lo, s7, v1, vcc_lo
	v_add_co_u32 v6, vcc_lo, s4, v0
	v_add_co_ci_u32_e32 v7, vcc_lo, s5, v1, vcc_lo
	global_load_b32 v8, v[4:5], off
	global_load_u16 v9, v[6:7], off
	s_waitcnt vmcnt(0)
	v_fma_mixlo_f16 v9, s3, v9, v8 op_sel_hi:[1,1,1]
	global_store_b16 v[4:5], v9, off
	global_load_u16 v6, v[6:7], off offset:2
	s_waitcnt vmcnt(0)
	v_fma_mixlo_f16 v6, s3, v6, v8 op_sel:[0,0,1] op_sel_hi:[1,1,1]
	global_store_b16 v[4:5], v6, off offset:2
.LBB183_3:
	s_or_b32 exec_lo, exec_lo, s8
	v_cmp_eq_u64_e32 vcc_lo, s[0:1], v[2:3]
	s_bitcmp1_b32 s2, 0
	s_cselect_b32 s0, -1, 0
	s_delay_alu instid0(SALU_CYCLE_1) | instskip(NEXT) | instid1(SALU_CYCLE_1)
	s_and_b32 s0, s0, vcc_lo
	s_and_saveexec_b32 s1, s0
	s_cbranch_execz .LBB183_5
; %bb.4:
	v_add_co_u32 v2, vcc_lo, s6, v0
	v_add_co_ci_u32_e32 v3, vcc_lo, s7, v1, vcc_lo
	v_add_co_u32 v0, vcc_lo, s4, v0
	v_add_co_ci_u32_e32 v1, vcc_lo, s5, v1, vcc_lo
	global_load_u16 v4, v[2:3], off
	global_load_u16 v0, v[0:1], off
	s_waitcnt vmcnt(0)
	v_fma_mixlo_f16 v0, s3, v0, v4 op_sel_hi:[1,1,1]
	global_store_b16 v[2:3], v0, off
.LBB183_5:
	s_nop 0
	s_sendmsg sendmsg(MSG_DEALLOC_VGPRS)
	s_endpgm
	.section	.rodata,"a",@progbits
	.p2align	6, 0x0
	.amdhsa_kernel _ZL22rocblas_saxpy_2_kernelILi256EfDF16_PKPKDF16_PKPDF16_EviT1_lT2_llT3_lli
		.amdhsa_group_segment_fixed_size 0
		.amdhsa_private_segment_fixed_size 0
		.amdhsa_kernarg_size 68
		.amdhsa_user_sgpr_count 14
		.amdhsa_user_sgpr_dispatch_ptr 0
		.amdhsa_user_sgpr_queue_ptr 0
		.amdhsa_user_sgpr_kernarg_segment_ptr 1
		.amdhsa_user_sgpr_dispatch_id 0
		.amdhsa_user_sgpr_private_segment_size 0
		.amdhsa_wavefront_size32 1
		.amdhsa_uses_dynamic_stack 0
		.amdhsa_enable_private_segment 0
		.amdhsa_system_sgpr_workgroup_id_x 1
		.amdhsa_system_sgpr_workgroup_id_y 0
		.amdhsa_system_sgpr_workgroup_id_z 1
		.amdhsa_system_sgpr_workgroup_info 0
		.amdhsa_system_vgpr_workitem_id 0
		.amdhsa_next_free_vgpr 10
		.amdhsa_next_free_sgpr 20
		.amdhsa_reserve_vcc 1
		.amdhsa_float_round_mode_32 0
		.amdhsa_float_round_mode_16_64 0
		.amdhsa_float_denorm_mode_32 3
		.amdhsa_float_denorm_mode_16_64 3
		.amdhsa_dx10_clamp 1
		.amdhsa_ieee_mode 1
		.amdhsa_fp16_overflow 0
		.amdhsa_workgroup_processor_mode 1
		.amdhsa_memory_ordered 1
		.amdhsa_forward_progress 0
		.amdhsa_shared_vgpr_count 0
		.amdhsa_exception_fp_ieee_invalid_op 0
		.amdhsa_exception_fp_denorm_src 0
		.amdhsa_exception_fp_ieee_div_zero 0
		.amdhsa_exception_fp_ieee_overflow 0
		.amdhsa_exception_fp_ieee_underflow 0
		.amdhsa_exception_fp_ieee_inexact 0
		.amdhsa_exception_int_div_zero 0
	.end_amdhsa_kernel
	.section	.text._ZL22rocblas_saxpy_2_kernelILi256EfDF16_PKPKDF16_PKPDF16_EviT1_lT2_llT3_lli,"axG",@progbits,_ZL22rocblas_saxpy_2_kernelILi256EfDF16_PKPKDF16_PKPDF16_EviT1_lT2_llT3_lli,comdat
.Lfunc_end183:
	.size	_ZL22rocblas_saxpy_2_kernelILi256EfDF16_PKPKDF16_PKPDF16_EviT1_lT2_llT3_lli, .Lfunc_end183-_ZL22rocblas_saxpy_2_kernelILi256EfDF16_PKPKDF16_PKPDF16_EviT1_lT2_llT3_lli
                                        ; -- End function
	.section	.AMDGPU.csdata,"",@progbits
; Kernel info:
; codeLenInByte = 380
; NumSgprs: 22
; NumVgprs: 10
; ScratchSize: 0
; MemoryBound: 0
; FloatMode: 240
; IeeeMode: 1
; LDSByteSize: 0 bytes/workgroup (compile time only)
; SGPRBlocks: 2
; VGPRBlocks: 1
; NumSGPRsForWavesPerEU: 22
; NumVGPRsForWavesPerEU: 10
; Occupancy: 16
; WaveLimiterHint : 1
; COMPUTE_PGM_RSRC2:SCRATCH_EN: 0
; COMPUTE_PGM_RSRC2:USER_SGPR: 14
; COMPUTE_PGM_RSRC2:TRAP_HANDLER: 0
; COMPUTE_PGM_RSRC2:TGID_X_EN: 1
; COMPUTE_PGM_RSRC2:TGID_Y_EN: 0
; COMPUTE_PGM_RSRC2:TGID_Z_EN: 1
; COMPUTE_PGM_RSRC2:TIDIG_COMP_CNT: 0
	.section	.text._ZL27rocblas_axpy_kernel_batchedIiLi128ELi8EfPKDF16_PKS1_PKPDF16_EviT3_lT4_lT_lT5_lS9_li,"axG",@progbits,_ZL27rocblas_axpy_kernel_batchedIiLi128ELi8EfPKDF16_PKS1_PKPDF16_EviT3_lT4_lT_lT5_lS9_li,comdat
	.globl	_ZL27rocblas_axpy_kernel_batchedIiLi128ELi8EfPKDF16_PKS1_PKPDF16_EviT3_lT4_lT_lT5_lS9_li ; -- Begin function _ZL27rocblas_axpy_kernel_batchedIiLi128ELi8EfPKDF16_PKS1_PKPDF16_EviT3_lT4_lT_lT5_lS9_li
	.p2align	8
	.type	_ZL27rocblas_axpy_kernel_batchedIiLi128ELi8EfPKDF16_PKS1_PKPDF16_EviT3_lT4_lT_lT5_lS9_li,@function
_ZL27rocblas_axpy_kernel_batchedIiLi128ELi8EfPKDF16_PKS1_PKPDF16_EviT3_lT4_lT_lT5_lS9_li: ; @_ZL27rocblas_axpy_kernel_batchedIiLi128ELi8EfPKDF16_PKS1_PKPDF16_EviT3_lT4_lT_lT5_lS9_li
; %bb.0:
	s_load_b32 s2, s[0:1], 0x0
	v_dual_mov_b32 v6, 0 :: v_dual_and_b32 v1, 0x3ff, v0
	s_delay_alu instid0(VALU_DEP_1)
	v_lshl_add_u32 v5, s14, 7, v1
	s_waitcnt lgkmcnt(0)
	s_ashr_i32 s3, s2, 31
	s_delay_alu instid0(VALU_DEP_1) | instid1(SALU_CYCLE_1)
	v_cmp_gt_i64_e32 vcc_lo, s[2:3], v[5:6]
	s_and_saveexec_b32 s2, vcc_lo
	s_cbranch_execz .LBB184_13
; %bb.1:
	s_clause 0x3
	s_load_b32 s13, s[0:1], 0x28
	s_load_b32 s14, s[0:1], 0x48
	s_load_b128 s[8:11], s[0:1], 0x38
	s_load_b32 s12, s[0:1], 0x58
	v_bfe_u32 v0, v0, 10, 10
	s_load_b256 s[0:7], s[0:1], 0x8
	s_waitcnt lgkmcnt(0)
	v_mad_u64_u32 v[1:2], null, s13, v5, 0
	v_mad_u64_u32 v[3:4], null, s14, v5, 0
	v_lshlrev_b32_e32 v9, 2, v0
	s_ashr_i32 s13, s13, 31
	s_ashr_i32 s14, s14, 31
	s_delay_alu instid0(VALU_DEP_3) | instskip(NEXT) | instid1(VALU_DEP_3)
	v_mov_b32_e32 v0, v2
	v_mov_b32_e32 v2, v4
	s_delay_alu instid0(VALU_DEP_2) | instskip(NEXT) | instid1(VALU_DEP_2)
	v_mad_u64_u32 v[6:7], null, s13, v5, v[0:1]
	v_mad_u64_u32 v[7:8], null, s14, v5, v[2:3]
	v_lshl_add_u32 v5, s15, 5, v9
	s_mov_b32 s13, exec_lo
	s_delay_alu instid0(VALU_DEP_3) | instskip(NEXT) | instid1(VALU_DEP_3)
	v_mov_b32_e32 v2, v6
	v_mov_b32_e32 v4, v7
	s_delay_alu instid0(VALU_DEP_3)
	v_cmpx_gt_u32_e64 s12, v5
	s_cbranch_execz .LBB184_4
; %bb.2:
	v_mad_u64_u32 v[6:7], null, v5, s2, 0
	s_delay_alu instid0(VALU_DEP_1) | instskip(NEXT) | instid1(VALU_DEP_1)
	v_mov_b32_e32 v0, v7
	v_mad_u64_u32 v[7:8], null, v5, s3, v[0:1]
	s_delay_alu instid0(VALU_DEP_1) | instskip(NEXT) | instid1(VALU_DEP_1)
	v_lshlrev_b64 v[6:7], 1, v[6:7]
	v_add_co_u32 v6, vcc_lo, s0, v6
	s_delay_alu instid0(VALU_DEP_2)
	v_add_co_ci_u32_e32 v7, vcc_lo, s1, v7, vcc_lo
	global_load_u16 v0, v[6:7], off
	s_waitcnt vmcnt(0)
	v_cmp_neq_f16_e32 vcc_lo, 0, v0
	s_and_b32 exec_lo, exec_lo, vcc_lo
	s_cbranch_execz .LBB184_4
; %bb.3:
	v_mov_b32_e32 v6, 0
	v_lshlrev_b64 v[10:11], 1, v[3:4]
	v_lshlrev_b64 v[12:13], 1, v[1:2]
	s_lshl_b64 s[16:17], s[10:11], 1
	s_lshl_b64 s[14:15], s[6:7], 1
	v_lshlrev_b64 v[6:7], 3, v[5:6]
	s_delay_alu instid0(VALU_DEP_1) | instskip(NEXT) | instid1(VALU_DEP_2)
	v_add_co_u32 v8, vcc_lo, s8, v6
	v_add_co_ci_u32_e32 v9, vcc_lo, s9, v7, vcc_lo
	v_add_co_u32 v6, vcc_lo, s4, v6
	v_add_co_ci_u32_e32 v7, vcc_lo, s5, v7, vcc_lo
	global_load_b64 v[8:9], v[8:9], off
	global_load_b64 v[6:7], v[6:7], off
	s_waitcnt vmcnt(1)
	v_add_co_u32 v8, vcc_lo, v8, v10
	v_add_co_ci_u32_e32 v9, vcc_lo, v9, v11, vcc_lo
	s_waitcnt vmcnt(0)
	v_add_co_u32 v10, vcc_lo, v6, v12
	v_add_co_ci_u32_e32 v11, vcc_lo, v7, v13, vcc_lo
	v_add_co_u32 v6, vcc_lo, v8, s16
	v_add_co_ci_u32_e32 v7, vcc_lo, s17, v9, vcc_lo
	s_delay_alu instid0(VALU_DEP_4) | instskip(NEXT) | instid1(VALU_DEP_4)
	v_add_co_u32 v8, vcc_lo, v10, s14
	v_add_co_ci_u32_e32 v9, vcc_lo, s15, v11, vcc_lo
	global_load_u16 v10, v[6:7], off
	global_load_u16 v8, v[8:9], off
	s_waitcnt vmcnt(0)
	v_fma_mixlo_f16 v0, v0, v8, v10 op_sel_hi:[1,1,1]
	global_store_b16 v[6:7], v0, off
.LBB184_4:
	s_or_b32 exec_lo, exec_lo, s13
	v_or_b32_e32 v0, 1, v5
	s_mov_b32 s13, exec_lo
	s_delay_alu instid0(VALU_DEP_1)
	v_cmpx_gt_u32_e64 s12, v0
	s_cbranch_execz .LBB184_7
; %bb.5:
	v_mad_u64_u32 v[6:7], null, v0, s2, 0
	s_delay_alu instid0(VALU_DEP_1) | instskip(NEXT) | instid1(VALU_DEP_1)
	v_mad_u64_u32 v[8:9], null, v0, s3, v[7:8]
	v_mov_b32_e32 v7, v8
	s_delay_alu instid0(VALU_DEP_1) | instskip(NEXT) | instid1(VALU_DEP_1)
	v_lshlrev_b64 v[6:7], 1, v[6:7]
	v_add_co_u32 v6, vcc_lo, s0, v6
	s_delay_alu instid0(VALU_DEP_2)
	v_add_co_ci_u32_e32 v7, vcc_lo, s1, v7, vcc_lo
	global_load_u16 v0, v[6:7], off
	s_waitcnt vmcnt(0)
	v_cmp_neq_f16_e32 vcc_lo, 0, v0
	s_and_b32 exec_lo, exec_lo, vcc_lo
	s_cbranch_execz .LBB184_7
; %bb.6:
	v_mov_b32_e32 v6, 0
	v_lshlrev_b64 v[10:11], 1, v[3:4]
	v_lshlrev_b64 v[12:13], 1, v[1:2]
	s_lshl_b64 s[16:17], s[10:11], 1
	s_lshl_b64 s[14:15], s[6:7], 1
	v_lshlrev_b64 v[6:7], 3, v[5:6]
	s_delay_alu instid0(VALU_DEP_1) | instskip(NEXT) | instid1(VALU_DEP_2)
	v_add_co_u32 v8, vcc_lo, s8, v6
	v_add_co_ci_u32_e32 v9, vcc_lo, s9, v7, vcc_lo
	v_add_co_u32 v6, vcc_lo, s4, v6
	v_add_co_ci_u32_e32 v7, vcc_lo, s5, v7, vcc_lo
	global_load_b64 v[8:9], v[8:9], off offset:8
	global_load_b64 v[6:7], v[6:7], off offset:8
	s_waitcnt vmcnt(1)
	v_add_co_u32 v8, vcc_lo, v8, v10
	v_add_co_ci_u32_e32 v9, vcc_lo, v9, v11, vcc_lo
	s_waitcnt vmcnt(0)
	v_add_co_u32 v10, vcc_lo, v6, v12
	v_add_co_ci_u32_e32 v11, vcc_lo, v7, v13, vcc_lo
	v_add_co_u32 v6, vcc_lo, v8, s16
	v_add_co_ci_u32_e32 v7, vcc_lo, s17, v9, vcc_lo
	s_delay_alu instid0(VALU_DEP_4) | instskip(NEXT) | instid1(VALU_DEP_4)
	v_add_co_u32 v8, vcc_lo, v10, s14
	v_add_co_ci_u32_e32 v9, vcc_lo, s15, v11, vcc_lo
	global_load_u16 v10, v[6:7], off
	global_load_u16 v8, v[8:9], off
	s_waitcnt vmcnt(0)
	v_fma_mixlo_f16 v0, v0, v8, v10 op_sel_hi:[1,1,1]
	global_store_b16 v[6:7], v0, off
.LBB184_7:
	s_or_b32 exec_lo, exec_lo, s13
	v_or_b32_e32 v0, 2, v5
	s_mov_b32 s13, exec_lo
	s_delay_alu instid0(VALU_DEP_1)
	v_cmpx_gt_u32_e64 s12, v0
	s_cbranch_execz .LBB184_10
; %bb.8:
	v_mad_u64_u32 v[6:7], null, v0, s2, 0
	s_delay_alu instid0(VALU_DEP_1) | instskip(NEXT) | instid1(VALU_DEP_1)
	v_mad_u64_u32 v[8:9], null, v0, s3, v[7:8]
	v_mov_b32_e32 v7, v8
	s_delay_alu instid0(VALU_DEP_1) | instskip(NEXT) | instid1(VALU_DEP_1)
	v_lshlrev_b64 v[6:7], 1, v[6:7]
	v_add_co_u32 v6, vcc_lo, s0, v6
	s_delay_alu instid0(VALU_DEP_2)
	v_add_co_ci_u32_e32 v7, vcc_lo, s1, v7, vcc_lo
	global_load_u16 v0, v[6:7], off
	s_waitcnt vmcnt(0)
	v_cmp_neq_f16_e32 vcc_lo, 0, v0
	s_and_b32 exec_lo, exec_lo, vcc_lo
	s_cbranch_execz .LBB184_10
; %bb.9:
	v_mov_b32_e32 v6, 0
	v_lshlrev_b64 v[10:11], 1, v[3:4]
	v_lshlrev_b64 v[12:13], 1, v[1:2]
	s_lshl_b64 s[16:17], s[10:11], 1
	s_lshl_b64 s[14:15], s[6:7], 1
	v_lshlrev_b64 v[6:7], 3, v[5:6]
	s_delay_alu instid0(VALU_DEP_1) | instskip(NEXT) | instid1(VALU_DEP_2)
	v_add_co_u32 v8, vcc_lo, s8, v6
	v_add_co_ci_u32_e32 v9, vcc_lo, s9, v7, vcc_lo
	v_add_co_u32 v6, vcc_lo, s4, v6
	v_add_co_ci_u32_e32 v7, vcc_lo, s5, v7, vcc_lo
	global_load_b64 v[8:9], v[8:9], off offset:16
	global_load_b64 v[6:7], v[6:7], off offset:16
	s_waitcnt vmcnt(1)
	v_add_co_u32 v8, vcc_lo, v8, v10
	v_add_co_ci_u32_e32 v9, vcc_lo, v9, v11, vcc_lo
	s_waitcnt vmcnt(0)
	v_add_co_u32 v10, vcc_lo, v6, v12
	v_add_co_ci_u32_e32 v11, vcc_lo, v7, v13, vcc_lo
	v_add_co_u32 v6, vcc_lo, v8, s16
	v_add_co_ci_u32_e32 v7, vcc_lo, s17, v9, vcc_lo
	s_delay_alu instid0(VALU_DEP_4) | instskip(NEXT) | instid1(VALU_DEP_4)
	v_add_co_u32 v8, vcc_lo, v10, s14
	v_add_co_ci_u32_e32 v9, vcc_lo, s15, v11, vcc_lo
	global_load_u16 v10, v[6:7], off
	global_load_u16 v8, v[8:9], off
	s_waitcnt vmcnt(0)
	v_fma_mixlo_f16 v0, v0, v8, v10 op_sel_hi:[1,1,1]
	global_store_b16 v[6:7], v0, off
.LBB184_10:
	s_or_b32 exec_lo, exec_lo, s13
	v_or_b32_e32 v0, 3, v5
	s_delay_alu instid0(VALU_DEP_1)
	v_cmp_gt_u32_e32 vcc_lo, s12, v0
	s_and_b32 exec_lo, exec_lo, vcc_lo
	s_cbranch_execz .LBB184_13
; %bb.11:
	v_mad_u64_u32 v[6:7], null, v0, s2, 0
	s_delay_alu instid0(VALU_DEP_1) | instskip(NEXT) | instid1(VALU_DEP_1)
	v_mad_u64_u32 v[8:9], null, v0, s3, v[7:8]
	v_mov_b32_e32 v7, v8
	s_delay_alu instid0(VALU_DEP_1) | instskip(NEXT) | instid1(VALU_DEP_1)
	v_lshlrev_b64 v[6:7], 1, v[6:7]
	v_add_co_u32 v6, vcc_lo, s0, v6
	s_delay_alu instid0(VALU_DEP_2)
	v_add_co_ci_u32_e32 v7, vcc_lo, s1, v7, vcc_lo
	global_load_u16 v0, v[6:7], off
	s_waitcnt vmcnt(0)
	v_cmp_neq_f16_e32 vcc_lo, 0, v0
	s_and_b32 exec_lo, exec_lo, vcc_lo
	s_cbranch_execz .LBB184_13
; %bb.12:
	v_mov_b32_e32 v6, 0
	v_lshlrev_b64 v[3:4], 1, v[3:4]
	v_lshlrev_b64 v[1:2], 1, v[1:2]
	s_lshl_b64 s[2:3], s[10:11], 1
	s_lshl_b64 s[0:1], s[6:7], 1
	v_lshlrev_b64 v[5:6], 3, v[5:6]
	s_delay_alu instid0(VALU_DEP_1) | instskip(NEXT) | instid1(VALU_DEP_2)
	v_add_co_u32 v7, vcc_lo, s8, v5
	v_add_co_ci_u32_e32 v8, vcc_lo, s9, v6, vcc_lo
	v_add_co_u32 v5, vcc_lo, s4, v5
	v_add_co_ci_u32_e32 v6, vcc_lo, s5, v6, vcc_lo
	global_load_b64 v[7:8], v[7:8], off offset:24
	global_load_b64 v[5:6], v[5:6], off offset:24
	s_waitcnt vmcnt(1)
	v_add_co_u32 v3, vcc_lo, v7, v3
	v_add_co_ci_u32_e32 v4, vcc_lo, v8, v4, vcc_lo
	s_waitcnt vmcnt(0)
	v_add_co_u32 v5, vcc_lo, v5, v1
	v_add_co_ci_u32_e32 v6, vcc_lo, v6, v2, vcc_lo
	v_add_co_u32 v1, vcc_lo, v3, s2
	v_add_co_ci_u32_e32 v2, vcc_lo, s3, v4, vcc_lo
	s_delay_alu instid0(VALU_DEP_4) | instskip(NEXT) | instid1(VALU_DEP_4)
	v_add_co_u32 v3, vcc_lo, v5, s0
	v_add_co_ci_u32_e32 v4, vcc_lo, s1, v6, vcc_lo
	global_load_u16 v5, v[1:2], off
	global_load_u16 v3, v[3:4], off
	s_waitcnt vmcnt(0)
	v_fma_mixlo_f16 v0, v0, v3, v5 op_sel_hi:[1,1,1]
	global_store_b16 v[1:2], v0, off
.LBB184_13:
	s_nop 0
	s_sendmsg sendmsg(MSG_DEALLOC_VGPRS)
	s_endpgm
	.section	.rodata,"a",@progbits
	.p2align	6, 0x0
	.amdhsa_kernel _ZL27rocblas_axpy_kernel_batchedIiLi128ELi8EfPKDF16_PKS1_PKPDF16_EviT3_lT4_lT_lT5_lS9_li
		.amdhsa_group_segment_fixed_size 0
		.amdhsa_private_segment_fixed_size 0
		.amdhsa_kernarg_size 92
		.amdhsa_user_sgpr_count 14
		.amdhsa_user_sgpr_dispatch_ptr 0
		.amdhsa_user_sgpr_queue_ptr 0
		.amdhsa_user_sgpr_kernarg_segment_ptr 1
		.amdhsa_user_sgpr_dispatch_id 0
		.amdhsa_user_sgpr_private_segment_size 0
		.amdhsa_wavefront_size32 1
		.amdhsa_uses_dynamic_stack 0
		.amdhsa_enable_private_segment 0
		.amdhsa_system_sgpr_workgroup_id_x 1
		.amdhsa_system_sgpr_workgroup_id_y 0
		.amdhsa_system_sgpr_workgroup_id_z 1
		.amdhsa_system_sgpr_workgroup_info 0
		.amdhsa_system_vgpr_workitem_id 1
		.amdhsa_next_free_vgpr 14
		.amdhsa_next_free_sgpr 18
		.amdhsa_reserve_vcc 1
		.amdhsa_float_round_mode_32 0
		.amdhsa_float_round_mode_16_64 0
		.amdhsa_float_denorm_mode_32 3
		.amdhsa_float_denorm_mode_16_64 3
		.amdhsa_dx10_clamp 1
		.amdhsa_ieee_mode 1
		.amdhsa_fp16_overflow 0
		.amdhsa_workgroup_processor_mode 1
		.amdhsa_memory_ordered 1
		.amdhsa_forward_progress 0
		.amdhsa_shared_vgpr_count 0
		.amdhsa_exception_fp_ieee_invalid_op 0
		.amdhsa_exception_fp_denorm_src 0
		.amdhsa_exception_fp_ieee_div_zero 0
		.amdhsa_exception_fp_ieee_overflow 0
		.amdhsa_exception_fp_ieee_underflow 0
		.amdhsa_exception_fp_ieee_inexact 0
		.amdhsa_exception_int_div_zero 0
	.end_amdhsa_kernel
	.section	.text._ZL27rocblas_axpy_kernel_batchedIiLi128ELi8EfPKDF16_PKS1_PKPDF16_EviT3_lT4_lT_lT5_lS9_li,"axG",@progbits,_ZL27rocblas_axpy_kernel_batchedIiLi128ELi8EfPKDF16_PKS1_PKPDF16_EviT3_lT4_lT_lT5_lS9_li,comdat
.Lfunc_end184:
	.size	_ZL27rocblas_axpy_kernel_batchedIiLi128ELi8EfPKDF16_PKS1_PKPDF16_EviT3_lT4_lT_lT5_lS9_li, .Lfunc_end184-_ZL27rocblas_axpy_kernel_batchedIiLi128ELi8EfPKDF16_PKS1_PKPDF16_EviT3_lT4_lT_lT5_lS9_li
                                        ; -- End function
	.section	.AMDGPU.csdata,"",@progbits
; Kernel info:
; codeLenInByte = 1312
; NumSgprs: 20
; NumVgprs: 14
; ScratchSize: 0
; MemoryBound: 0
; FloatMode: 240
; IeeeMode: 1
; LDSByteSize: 0 bytes/workgroup (compile time only)
; SGPRBlocks: 2
; VGPRBlocks: 1
; NumSGPRsForWavesPerEU: 20
; NumVGPRsForWavesPerEU: 14
; Occupancy: 16
; WaveLimiterHint : 1
; COMPUTE_PGM_RSRC2:SCRATCH_EN: 0
; COMPUTE_PGM_RSRC2:USER_SGPR: 14
; COMPUTE_PGM_RSRC2:TRAP_HANDLER: 0
; COMPUTE_PGM_RSRC2:TGID_X_EN: 1
; COMPUTE_PGM_RSRC2:TGID_Y_EN: 0
; COMPUTE_PGM_RSRC2:TGID_Z_EN: 1
; COMPUTE_PGM_RSRC2:TIDIG_COMP_CNT: 1
	.section	.text._ZL27rocblas_axpy_kernel_batchedIiLi128ELi8EfDF16_PKPKDF16_PKPDF16_EviT3_lT4_lT_lT5_lS9_li,"axG",@progbits,_ZL27rocblas_axpy_kernel_batchedIiLi128ELi8EfDF16_PKPKDF16_PKPDF16_EviT3_lT4_lT_lT5_lS9_li,comdat
	.globl	_ZL27rocblas_axpy_kernel_batchedIiLi128ELi8EfDF16_PKPKDF16_PKPDF16_EviT3_lT4_lT_lT5_lS9_li ; -- Begin function _ZL27rocblas_axpy_kernel_batchedIiLi128ELi8EfDF16_PKPKDF16_PKPDF16_EviT3_lT4_lT_lT5_lS9_li
	.p2align	8
	.type	_ZL27rocblas_axpy_kernel_batchedIiLi128ELi8EfDF16_PKPKDF16_PKPDF16_EviT3_lT4_lT_lT5_lS9_li,@function
_ZL27rocblas_axpy_kernel_batchedIiLi128ELi8EfDF16_PKPKDF16_PKPDF16_EviT3_lT4_lT_lT5_lS9_li: ; @_ZL27rocblas_axpy_kernel_batchedIiLi128ELi8EfDF16_PKPKDF16_PKPDF16_EviT3_lT4_lT_lT5_lS9_li
; %bb.0:
	s_load_b64 s[8:9], s[0:1], 0x0
	v_dual_mov_b32 v2, 0 :: v_dual_and_b32 v1, 0x3ff, v0
	s_delay_alu instid0(VALU_DEP_1)
	v_lshl_add_u32 v1, s14, 7, v1
	s_waitcnt lgkmcnt(0)
	s_ashr_i32 s3, s8, 31
	s_mov_b32 s2, s8
	s_delay_alu instid0(VALU_DEP_1) | instid1(SALU_CYCLE_1)
	v_cmp_gt_i64_e32 vcc_lo, s[2:3], v[1:2]
	s_and_saveexec_b32 s2, vcc_lo
	s_cbranch_execz .LBB185_9
; %bb.1:
	s_clause 0x2
	s_load_b32 s10, s[0:1], 0x20
	s_load_b32 s11, s[0:1], 0x40
	;; [unrolled: 1-line block ×3, first 2 shown]
	v_bfe_u32 v4, v0, 10, 10
	s_clause 0x1
	s_load_b128 s[4:7], s[0:1], 0x10
	s_load_b128 s[0:3], s[0:1], 0x30
	s_waitcnt lgkmcnt(0)
	v_mad_u64_u32 v[2:3], null, s10, v1, 0
	v_mad_u64_u32 v[5:6], null, s11, v1, 0
	s_ashr_i32 s10, s10, 31
	s_ashr_i32 s11, s11, 31
	s_delay_alu instid0(VALU_DEP_1) | instskip(NEXT) | instid1(VALU_DEP_1)
	v_dual_mov_b32 v0, v3 :: v_dual_mov_b32 v3, v6
	v_mad_u64_u32 v[6:7], null, s10, v1, v[0:1]
	s_delay_alu instid0(VALU_DEP_2) | instskip(SKIP_2) | instid1(VALU_DEP_4)
	v_mad_u64_u32 v[7:8], null, s11, v1, v[3:4]
	v_lshlrev_b32_e32 v0, 2, v4
	v_cmp_neq_f16_e64 s10, s9, 0
	v_mov_b32_e32 v3, v6
	s_delay_alu instid0(VALU_DEP_3) | instskip(SKIP_1) | instid1(VALU_DEP_3)
	v_lshl_add_u32 v4, s15, 5, v0
	v_mov_b32_e32 v6, v7
	v_lshlrev_b64 v[0:1], 1, v[2:3]
	s_delay_alu instid0(VALU_DEP_3) | instskip(NEXT) | instid1(VALU_DEP_3)
	v_cmp_gt_u32_e32 vcc_lo, s8, v4
	v_lshlrev_b64 v[2:3], 1, v[5:6]
	v_cvt_f32_f16_e32 v6, s9
	s_and_b32 s11, s10, vcc_lo
	s_delay_alu instid0(SALU_CYCLE_1)
	s_and_saveexec_b32 s9, s11
	s_cbranch_execz .LBB185_3
; %bb.2:
	v_mov_b32_e32 v5, 0
	s_lshl_b64 s[14:15], s[2:3], 1
	s_lshl_b64 s[12:13], s[6:7], 1
	s_delay_alu instid0(VALU_DEP_1) | instskip(NEXT) | instid1(VALU_DEP_1)
	v_lshlrev_b64 v[7:8], 3, v[4:5]
	v_add_co_u32 v9, vcc_lo, s0, v7
	s_delay_alu instid0(VALU_DEP_2)
	v_add_co_ci_u32_e32 v10, vcc_lo, s1, v8, vcc_lo
	v_add_co_u32 v7, vcc_lo, s4, v7
	v_add_co_ci_u32_e32 v8, vcc_lo, s5, v8, vcc_lo
	global_load_b64 v[9:10], v[9:10], off
	global_load_b64 v[7:8], v[7:8], off
	s_waitcnt vmcnt(1)
	v_add_co_u32 v5, vcc_lo, v9, v2
	v_add_co_ci_u32_e32 v9, vcc_lo, v10, v3, vcc_lo
	s_waitcnt vmcnt(0)
	v_add_co_u32 v10, vcc_lo, v7, v0
	v_add_co_ci_u32_e32 v11, vcc_lo, v8, v1, vcc_lo
	v_add_co_u32 v7, vcc_lo, v5, s14
	v_add_co_ci_u32_e32 v8, vcc_lo, s15, v9, vcc_lo
	s_delay_alu instid0(VALU_DEP_4) | instskip(NEXT) | instid1(VALU_DEP_4)
	v_add_co_u32 v9, vcc_lo, v10, s12
	v_add_co_ci_u32_e32 v10, vcc_lo, s13, v11, vcc_lo
	global_load_u16 v5, v[7:8], off
	global_load_u16 v9, v[9:10], off
	s_waitcnt vmcnt(0)
	v_fma_mixlo_f16 v5, v6, v9, v5 op_sel_hi:[0,1,1]
	global_store_b16 v[7:8], v5, off
.LBB185_3:
	s_or_b32 exec_lo, exec_lo, s9
	v_or_b32_e32 v5, 1, v4
	s_delay_alu instid0(VALU_DEP_1) | instskip(SKIP_1) | instid1(SALU_CYCLE_1)
	v_cmp_gt_u32_e32 vcc_lo, s8, v5
	s_and_b32 s11, s10, vcc_lo
	s_and_saveexec_b32 s9, s11
	s_cbranch_execz .LBB185_5
; %bb.4:
	v_mov_b32_e32 v5, 0
	s_lshl_b64 s[14:15], s[2:3], 1
	s_lshl_b64 s[12:13], s[6:7], 1
	s_delay_alu instid0(VALU_DEP_1) | instskip(NEXT) | instid1(VALU_DEP_1)
	v_lshlrev_b64 v[7:8], 3, v[4:5]
	v_add_co_u32 v9, vcc_lo, s0, v7
	s_delay_alu instid0(VALU_DEP_2)
	v_add_co_ci_u32_e32 v10, vcc_lo, s1, v8, vcc_lo
	v_add_co_u32 v7, vcc_lo, s4, v7
	v_add_co_ci_u32_e32 v8, vcc_lo, s5, v8, vcc_lo
	global_load_b64 v[9:10], v[9:10], off offset:8
	global_load_b64 v[7:8], v[7:8], off offset:8
	s_waitcnt vmcnt(1)
	v_add_co_u32 v5, vcc_lo, v9, v2
	v_add_co_ci_u32_e32 v9, vcc_lo, v10, v3, vcc_lo
	s_waitcnt vmcnt(0)
	v_add_co_u32 v10, vcc_lo, v7, v0
	v_add_co_ci_u32_e32 v11, vcc_lo, v8, v1, vcc_lo
	v_add_co_u32 v7, vcc_lo, v5, s14
	v_add_co_ci_u32_e32 v8, vcc_lo, s15, v9, vcc_lo
	s_delay_alu instid0(VALU_DEP_4) | instskip(NEXT) | instid1(VALU_DEP_4)
	v_add_co_u32 v9, vcc_lo, v10, s12
	v_add_co_ci_u32_e32 v10, vcc_lo, s13, v11, vcc_lo
	global_load_u16 v5, v[7:8], off
	global_load_u16 v9, v[9:10], off
	s_waitcnt vmcnt(0)
	v_fma_mixlo_f16 v5, v6, v9, v5 op_sel_hi:[0,1,1]
	global_store_b16 v[7:8], v5, off
.LBB185_5:
	s_or_b32 exec_lo, exec_lo, s9
	v_or_b32_e32 v5, 2, v4
	s_delay_alu instid0(VALU_DEP_1) | instskip(SKIP_1) | instid1(SALU_CYCLE_1)
	v_cmp_gt_u32_e32 vcc_lo, s8, v5
	s_and_b32 s11, s10, vcc_lo
	s_and_saveexec_b32 s9, s11
	s_cbranch_execz .LBB185_7
; %bb.6:
	v_mov_b32_e32 v5, 0
	s_lshl_b64 s[14:15], s[2:3], 1
	s_lshl_b64 s[12:13], s[6:7], 1
	s_delay_alu instid0(VALU_DEP_1) | instskip(NEXT) | instid1(VALU_DEP_1)
	v_lshlrev_b64 v[7:8], 3, v[4:5]
	v_add_co_u32 v9, vcc_lo, s0, v7
	s_delay_alu instid0(VALU_DEP_2)
	v_add_co_ci_u32_e32 v10, vcc_lo, s1, v8, vcc_lo
	v_add_co_u32 v7, vcc_lo, s4, v7
	v_add_co_ci_u32_e32 v8, vcc_lo, s5, v8, vcc_lo
	global_load_b64 v[9:10], v[9:10], off offset:16
	global_load_b64 v[7:8], v[7:8], off offset:16
	s_waitcnt vmcnt(1)
	v_add_co_u32 v5, vcc_lo, v9, v2
	v_add_co_ci_u32_e32 v9, vcc_lo, v10, v3, vcc_lo
	s_waitcnt vmcnt(0)
	v_add_co_u32 v10, vcc_lo, v7, v0
	v_add_co_ci_u32_e32 v11, vcc_lo, v8, v1, vcc_lo
	v_add_co_u32 v7, vcc_lo, v5, s14
	v_add_co_ci_u32_e32 v8, vcc_lo, s15, v9, vcc_lo
	s_delay_alu instid0(VALU_DEP_4) | instskip(NEXT) | instid1(VALU_DEP_4)
	v_add_co_u32 v9, vcc_lo, v10, s12
	v_add_co_ci_u32_e32 v10, vcc_lo, s13, v11, vcc_lo
	global_load_u16 v5, v[7:8], off
	global_load_u16 v9, v[9:10], off
	s_waitcnt vmcnt(0)
	v_fma_mixlo_f16 v5, v6, v9, v5 op_sel_hi:[0,1,1]
	global_store_b16 v[7:8], v5, off
.LBB185_7:
	s_or_b32 exec_lo, exec_lo, s9
	v_or_b32_e32 v5, 3, v4
	s_delay_alu instid0(VALU_DEP_1) | instskip(SKIP_1) | instid1(SALU_CYCLE_1)
	v_cmp_gt_u32_e32 vcc_lo, s8, v5
	s_and_b32 s8, s10, vcc_lo
	s_and_b32 exec_lo, exec_lo, s8
	s_cbranch_execz .LBB185_9
; %bb.8:
	v_mov_b32_e32 v5, 0
	s_lshl_b64 s[2:3], s[2:3], 1
	s_delay_alu instid0(VALU_DEP_1) | instskip(NEXT) | instid1(VALU_DEP_1)
	v_lshlrev_b64 v[4:5], 3, v[4:5]
	v_add_co_u32 v7, vcc_lo, s0, v4
	s_delay_alu instid0(VALU_DEP_2)
	v_add_co_ci_u32_e32 v8, vcc_lo, s1, v5, vcc_lo
	v_add_co_u32 v4, vcc_lo, s4, v4
	v_add_co_ci_u32_e32 v5, vcc_lo, s5, v5, vcc_lo
	s_lshl_b64 s[0:1], s[6:7], 1
	global_load_b64 v[7:8], v[7:8], off offset:24
	global_load_b64 v[4:5], v[4:5], off offset:24
	s_waitcnt vmcnt(1)
	v_add_co_u32 v2, vcc_lo, v7, v2
	v_add_co_ci_u32_e32 v3, vcc_lo, v8, v3, vcc_lo
	s_waitcnt vmcnt(0)
	v_add_co_u32 v4, vcc_lo, v4, v0
	v_add_co_ci_u32_e32 v5, vcc_lo, v5, v1, vcc_lo
	v_add_co_u32 v0, vcc_lo, v2, s2
	v_add_co_ci_u32_e32 v1, vcc_lo, s3, v3, vcc_lo
	s_delay_alu instid0(VALU_DEP_4) | instskip(NEXT) | instid1(VALU_DEP_4)
	v_add_co_u32 v2, vcc_lo, v4, s0
	v_add_co_ci_u32_e32 v3, vcc_lo, s1, v5, vcc_lo
	global_load_u16 v4, v[0:1], off
	global_load_u16 v2, v[2:3], off
	s_waitcnt vmcnt(0)
	v_fma_mixlo_f16 v2, v6, v2, v4 op_sel_hi:[0,1,1]
	global_store_b16 v[0:1], v2, off
.LBB185_9:
	s_nop 0
	s_sendmsg sendmsg(MSG_DEALLOC_VGPRS)
	s_endpgm
	.section	.rodata,"a",@progbits
	.p2align	6, 0x0
	.amdhsa_kernel _ZL27rocblas_axpy_kernel_batchedIiLi128ELi8EfDF16_PKPKDF16_PKPDF16_EviT3_lT4_lT_lT5_lS9_li
		.amdhsa_group_segment_fixed_size 0
		.amdhsa_private_segment_fixed_size 0
		.amdhsa_kernarg_size 84
		.amdhsa_user_sgpr_count 14
		.amdhsa_user_sgpr_dispatch_ptr 0
		.amdhsa_user_sgpr_queue_ptr 0
		.amdhsa_user_sgpr_kernarg_segment_ptr 1
		.amdhsa_user_sgpr_dispatch_id 0
		.amdhsa_user_sgpr_private_segment_size 0
		.amdhsa_wavefront_size32 1
		.amdhsa_uses_dynamic_stack 0
		.amdhsa_enable_private_segment 0
		.amdhsa_system_sgpr_workgroup_id_x 1
		.amdhsa_system_sgpr_workgroup_id_y 0
		.amdhsa_system_sgpr_workgroup_id_z 1
		.amdhsa_system_sgpr_workgroup_info 0
		.amdhsa_system_vgpr_workitem_id 1
		.amdhsa_next_free_vgpr 12
		.amdhsa_next_free_sgpr 16
		.amdhsa_reserve_vcc 1
		.amdhsa_float_round_mode_32 0
		.amdhsa_float_round_mode_16_64 0
		.amdhsa_float_denorm_mode_32 3
		.amdhsa_float_denorm_mode_16_64 3
		.amdhsa_dx10_clamp 1
		.amdhsa_ieee_mode 1
		.amdhsa_fp16_overflow 0
		.amdhsa_workgroup_processor_mode 1
		.amdhsa_memory_ordered 1
		.amdhsa_forward_progress 0
		.amdhsa_shared_vgpr_count 0
		.amdhsa_exception_fp_ieee_invalid_op 0
		.amdhsa_exception_fp_denorm_src 0
		.amdhsa_exception_fp_ieee_div_zero 0
		.amdhsa_exception_fp_ieee_overflow 0
		.amdhsa_exception_fp_ieee_underflow 0
		.amdhsa_exception_fp_ieee_inexact 0
		.amdhsa_exception_int_div_zero 0
	.end_amdhsa_kernel
	.section	.text._ZL27rocblas_axpy_kernel_batchedIiLi128ELi8EfDF16_PKPKDF16_PKPDF16_EviT3_lT4_lT_lT5_lS9_li,"axG",@progbits,_ZL27rocblas_axpy_kernel_batchedIiLi128ELi8EfDF16_PKPKDF16_PKPDF16_EviT3_lT4_lT_lT5_lS9_li,comdat
.Lfunc_end185:
	.size	_ZL27rocblas_axpy_kernel_batchedIiLi128ELi8EfDF16_PKPKDF16_PKPDF16_EviT3_lT4_lT_lT5_lS9_li, .Lfunc_end185-_ZL27rocblas_axpy_kernel_batchedIiLi128ELi8EfDF16_PKPKDF16_PKPDF16_EviT3_lT4_lT_lT5_lS9_li
                                        ; -- End function
	.section	.AMDGPU.csdata,"",@progbits
; Kernel info:
; codeLenInByte = 1004
; NumSgprs: 18
; NumVgprs: 12
; ScratchSize: 0
; MemoryBound: 0
; FloatMode: 240
; IeeeMode: 1
; LDSByteSize: 0 bytes/workgroup (compile time only)
; SGPRBlocks: 2
; VGPRBlocks: 1
; NumSGPRsForWavesPerEU: 18
; NumVGPRsForWavesPerEU: 12
; Occupancy: 16
; WaveLimiterHint : 1
; COMPUTE_PGM_RSRC2:SCRATCH_EN: 0
; COMPUTE_PGM_RSRC2:USER_SGPR: 14
; COMPUTE_PGM_RSRC2:TRAP_HANDLER: 0
; COMPUTE_PGM_RSRC2:TGID_X_EN: 1
; COMPUTE_PGM_RSRC2:TGID_Y_EN: 0
; COMPUTE_PGM_RSRC2:TGID_Z_EN: 1
; COMPUTE_PGM_RSRC2:TIDIG_COMP_CNT: 1
	.section	.text._ZL19rocblas_axpy_kernelIiLi256EfPKDF16_PKS1_PKPDF16_EviT2_lT3_lT_lT4_lS9_li,"axG",@progbits,_ZL19rocblas_axpy_kernelIiLi256EfPKDF16_PKS1_PKPDF16_EviT2_lT3_lT_lT4_lS9_li,comdat
	.globl	_ZL19rocblas_axpy_kernelIiLi256EfPKDF16_PKS1_PKPDF16_EviT2_lT3_lT_lT4_lS9_li ; -- Begin function _ZL19rocblas_axpy_kernelIiLi256EfPKDF16_PKS1_PKPDF16_EviT2_lT3_lT_lT4_lS9_li
	.p2align	8
	.type	_ZL19rocblas_axpy_kernelIiLi256EfPKDF16_PKS1_PKPDF16_EviT2_lT3_lT_lT4_lS9_li,@function
_ZL19rocblas_axpy_kernelIiLi256EfPKDF16_PKS1_PKPDF16_EviT2_lT3_lT_lT4_lS9_li: ; @_ZL19rocblas_axpy_kernelIiLi256EfPKDF16_PKS1_PKPDF16_EviT2_lT3_lT_lT4_lS9_li
; %bb.0:
	s_clause 0x1
	s_load_b128 s[8:11], s[0:1], 0x8
	s_load_b32 s2, s[0:1], 0x0
	v_mov_b32_e32 v1, 0
	v_lshl_or_b32 v0, s14, 8, v0
	s_waitcnt lgkmcnt(0)
	s_mul_i32 s3, s15, s11
	s_mul_hi_u32 s5, s15, s10
	s_mul_i32 s6, s15, s10
	s_add_i32 s7, s5, s3
	s_ashr_i32 s3, s2, 31
	s_lshl_b64 s[6:7], s[6:7], 1
	v_cmp_gt_i64_e32 vcc_lo, s[2:3], v[0:1]
	s_add_u32 s6, s8, s6
	s_addc_u32 s7, s9, s7
	s_mov_b32 s5, 0
	global_load_u16 v2, v1, s[6:7]
	s_waitcnt vmcnt(0)
	v_cmp_neq_f16_e64 s2, 0, v2
	s_delay_alu instid0(VALU_DEP_1) | instskip(NEXT) | instid1(SALU_CYCLE_1)
	s_and_b32 s2, vcc_lo, s2
	s_and_saveexec_b32 s3, s2
	s_cbranch_execz .LBB186_2
; %bb.1:
	s_clause 0x2
	s_load_b32 s12, s[0:1], 0x28
	s_load_b32 s13, s[0:1], 0x48
	s_load_b128 s[8:11], s[0:1], 0x18
	s_mov_b32 s4, s15
	s_delay_alu instid0(SALU_CYCLE_1)
	s_lshl_b64 s[4:5], s[4:5], 3
	s_waitcnt lgkmcnt(0)
	s_ashr_i32 s14, s12, 31
	s_ashr_i32 s15, s13, 31
	s_add_u32 s2, s8, s4
	s_addc_u32 s3, s9, s5
	v_mad_u64_u32 v[3:4], null, s13, v0, 0
	s_load_b64 s[6:7], s[2:3], 0x0
	s_load_b128 s[0:3], s[0:1], 0x38
	v_mad_u64_u32 v[5:6], null, s12, v0, 0
	s_lshl_b64 s[8:9], s[10:11], 1
	s_delay_alu instid0(VALU_DEP_1) | instskip(NEXT) | instid1(VALU_DEP_1)
	v_dual_mov_b32 v1, v4 :: v_dual_mov_b32 v4, v6
	v_mad_u64_u32 v[6:7], null, s15, v0, v[1:2]
	s_delay_alu instid0(VALU_DEP_2) | instskip(NEXT) | instid1(VALU_DEP_2)
	v_mad_u64_u32 v[7:8], null, s14, v0, v[4:5]
	v_mov_b32_e32 v4, v6
	s_waitcnt lgkmcnt(0)
	s_add_u32 s6, s8, s6
	s_addc_u32 s7, s9, s7
	s_add_u32 s0, s0, s4
	s_addc_u32 s1, s1, s5
	s_delay_alu instid0(VALU_DEP_2) | instskip(SKIP_3) | instid1(VALU_DEP_2)
	v_mov_b32_e32 v6, v7
	s_load_b64 s[0:1], s[0:1], 0x0
	v_lshlrev_b64 v[0:1], 1, v[3:4]
	s_lshl_b64 s[2:3], s[2:3], 1
	v_lshlrev_b64 v[3:4], 1, v[5:6]
	s_waitcnt lgkmcnt(0)
	s_add_u32 s0, s2, s0
	s_addc_u32 s1, s3, s1
	v_add_co_u32 v0, vcc_lo, s0, v0
	v_add_co_ci_u32_e32 v1, vcc_lo, s1, v1, vcc_lo
	v_add_co_u32 v3, vcc_lo, s6, v3
	v_add_co_ci_u32_e32 v4, vcc_lo, s7, v4, vcc_lo
	global_load_u16 v5, v[0:1], off
	global_load_u16 v3, v[3:4], off
	s_waitcnt vmcnt(0)
	v_fma_mixlo_f16 v2, v2, v3, v5 op_sel_hi:[1,1,1]
	global_store_b16 v[0:1], v2, off
.LBB186_2:
	s_nop 0
	s_sendmsg sendmsg(MSG_DEALLOC_VGPRS)
	s_endpgm
	.section	.rodata,"a",@progbits
	.p2align	6, 0x0
	.amdhsa_kernel _ZL19rocblas_axpy_kernelIiLi256EfPKDF16_PKS1_PKPDF16_EviT2_lT3_lT_lT4_lS9_li
		.amdhsa_group_segment_fixed_size 0
		.amdhsa_private_segment_fixed_size 0
		.amdhsa_kernarg_size 92
		.amdhsa_user_sgpr_count 14
		.amdhsa_user_sgpr_dispatch_ptr 0
		.amdhsa_user_sgpr_queue_ptr 0
		.amdhsa_user_sgpr_kernarg_segment_ptr 1
		.amdhsa_user_sgpr_dispatch_id 0
		.amdhsa_user_sgpr_private_segment_size 0
		.amdhsa_wavefront_size32 1
		.amdhsa_uses_dynamic_stack 0
		.amdhsa_enable_private_segment 0
		.amdhsa_system_sgpr_workgroup_id_x 1
		.amdhsa_system_sgpr_workgroup_id_y 0
		.amdhsa_system_sgpr_workgroup_id_z 1
		.amdhsa_system_sgpr_workgroup_info 0
		.amdhsa_system_vgpr_workitem_id 0
		.amdhsa_next_free_vgpr 9
		.amdhsa_next_free_sgpr 16
		.amdhsa_reserve_vcc 1
		.amdhsa_float_round_mode_32 0
		.amdhsa_float_round_mode_16_64 0
		.amdhsa_float_denorm_mode_32 3
		.amdhsa_float_denorm_mode_16_64 3
		.amdhsa_dx10_clamp 1
		.amdhsa_ieee_mode 1
		.amdhsa_fp16_overflow 0
		.amdhsa_workgroup_processor_mode 1
		.amdhsa_memory_ordered 1
		.amdhsa_forward_progress 0
		.amdhsa_shared_vgpr_count 0
		.amdhsa_exception_fp_ieee_invalid_op 0
		.amdhsa_exception_fp_denorm_src 0
		.amdhsa_exception_fp_ieee_div_zero 0
		.amdhsa_exception_fp_ieee_overflow 0
		.amdhsa_exception_fp_ieee_underflow 0
		.amdhsa_exception_fp_ieee_inexact 0
		.amdhsa_exception_int_div_zero 0
	.end_amdhsa_kernel
	.section	.text._ZL19rocblas_axpy_kernelIiLi256EfPKDF16_PKS1_PKPDF16_EviT2_lT3_lT_lT4_lS9_li,"axG",@progbits,_ZL19rocblas_axpy_kernelIiLi256EfPKDF16_PKS1_PKPDF16_EviT2_lT3_lT_lT4_lS9_li,comdat
.Lfunc_end186:
	.size	_ZL19rocblas_axpy_kernelIiLi256EfPKDF16_PKS1_PKPDF16_EviT2_lT3_lT_lT4_lS9_li, .Lfunc_end186-_ZL19rocblas_axpy_kernelIiLi256EfPKDF16_PKS1_PKPDF16_EviT2_lT3_lT_lT4_lS9_li
                                        ; -- End function
	.section	.AMDGPU.csdata,"",@progbits
; Kernel info:
; codeLenInByte = 384
; NumSgprs: 18
; NumVgprs: 9
; ScratchSize: 0
; MemoryBound: 0
; FloatMode: 240
; IeeeMode: 1
; LDSByteSize: 0 bytes/workgroup (compile time only)
; SGPRBlocks: 2
; VGPRBlocks: 1
; NumSGPRsForWavesPerEU: 18
; NumVGPRsForWavesPerEU: 9
; Occupancy: 16
; WaveLimiterHint : 1
; COMPUTE_PGM_RSRC2:SCRATCH_EN: 0
; COMPUTE_PGM_RSRC2:USER_SGPR: 14
; COMPUTE_PGM_RSRC2:TRAP_HANDLER: 0
; COMPUTE_PGM_RSRC2:TGID_X_EN: 1
; COMPUTE_PGM_RSRC2:TGID_Y_EN: 0
; COMPUTE_PGM_RSRC2:TGID_Z_EN: 1
; COMPUTE_PGM_RSRC2:TIDIG_COMP_CNT: 0
	.section	.text._ZL19rocblas_axpy_kernelIiLi256EfDF16_PKPKDF16_PKPDF16_EviT2_lT3_lT_lT4_lS9_li,"axG",@progbits,_ZL19rocblas_axpy_kernelIiLi256EfDF16_PKPKDF16_PKPDF16_EviT2_lT3_lT_lT4_lS9_li,comdat
	.globl	_ZL19rocblas_axpy_kernelIiLi256EfDF16_PKPKDF16_PKPDF16_EviT2_lT3_lT_lT4_lS9_li ; -- Begin function _ZL19rocblas_axpy_kernelIiLi256EfDF16_PKPKDF16_PKPDF16_EviT2_lT3_lT_lT4_lS9_li
	.p2align	8
	.type	_ZL19rocblas_axpy_kernelIiLi256EfDF16_PKPKDF16_PKPDF16_EviT2_lT3_lT_lT4_lS9_li,@function
_ZL19rocblas_axpy_kernelIiLi256EfDF16_PKPKDF16_PKPDF16_EviT2_lT3_lT_lT4_lS9_li: ; @_ZL19rocblas_axpy_kernelIiLi256EfDF16_PKPKDF16_PKPDF16_EviT2_lT3_lT_lT4_lS9_li
; %bb.0:
	s_load_b64 s[2:3], s[0:1], 0x0
	v_mov_b32_e32 v1, 0
	v_lshl_or_b32 v0, s14, 8, v0
	s_mov_b32 s5, 0
	s_waitcnt lgkmcnt(0)
	s_ashr_i32 s7, s2, 31
	s_mov_b32 s6, s2
	v_cmp_neq_f16_e64 s2, s3, 0
	v_cmp_gt_i64_e32 vcc_lo, s[6:7], v[0:1]
	s_delay_alu instid0(VALU_DEP_2) | instskip(NEXT) | instid1(SALU_CYCLE_1)
	s_and_b32 s2, s2, vcc_lo
	s_and_saveexec_b32 s6, s2
	s_cbranch_execz .LBB187_2
; %bb.1:
	s_clause 0x2
	s_load_b32 s2, s[0:1], 0x20
	s_load_b32 s14, s[0:1], 0x40
	s_load_b128 s[8:11], s[0:1], 0x10
	s_mov_b32 s4, s15
	s_delay_alu instid0(SALU_CYCLE_1)
	s_lshl_b64 s[12:13], s[4:5], 3
	s_waitcnt lgkmcnt(0)
	s_ashr_i32 s15, s2, 31
	s_ashr_i32 s16, s14, 31
	s_add_u32 s4, s8, s12
	s_addc_u32 s5, s9, s13
	v_mad_u64_u32 v[1:2], null, s14, v0, 0
	s_load_b64 s[8:9], s[4:5], 0x0
	s_load_b128 s[4:7], s[0:1], 0x30
	v_mad_u64_u32 v[3:4], null, s2, v0, 0
	s_lshl_b64 s[0:1], s[10:11], 1
	s_delay_alu instid0(VALU_DEP_1) | instskip(NEXT) | instid1(VALU_DEP_1)
	v_mad_u64_u32 v[5:6], null, s16, v0, v[2:3]
	v_mad_u64_u32 v[6:7], null, s15, v0, v[4:5]
	s_waitcnt lgkmcnt(0)
	s_add_u32 s2, s0, s8
	s_addc_u32 s8, s1, s9
	s_add_u32 s0, s4, s12
	s_addc_u32 s1, s5, s13
	v_mov_b32_e32 v2, v5
	s_load_b64 s[0:1], s[0:1], 0x0
	v_mov_b32_e32 v4, v6
	s_lshl_b64 s[4:5], s[6:7], 1
	s_delay_alu instid0(VALU_DEP_2) | instskip(NEXT) | instid1(VALU_DEP_2)
	v_lshlrev_b64 v[0:1], 1, v[1:2]
	v_lshlrev_b64 v[2:3], 1, v[3:4]
	s_waitcnt lgkmcnt(0)
	s_add_u32 s0, s4, s0
	s_addc_u32 s1, s5, s1
	s_delay_alu instid0(VALU_DEP_2)
	v_add_co_u32 v0, vcc_lo, s0, v0
	v_add_co_ci_u32_e32 v1, vcc_lo, s1, v1, vcc_lo
	v_add_co_u32 v2, vcc_lo, s2, v2
	v_add_co_ci_u32_e32 v3, vcc_lo, s8, v3, vcc_lo
	global_load_u16 v4, v[0:1], off
	global_load_u16 v2, v[2:3], off
	s_waitcnt vmcnt(0)
	v_fma_mixlo_f16 v2, s3, v2, v4 op_sel_hi:[1,1,1]
	global_store_b16 v[0:1], v2, off
.LBB187_2:
	s_nop 0
	s_sendmsg sendmsg(MSG_DEALLOC_VGPRS)
	s_endpgm
	.section	.rodata,"a",@progbits
	.p2align	6, 0x0
	.amdhsa_kernel _ZL19rocblas_axpy_kernelIiLi256EfDF16_PKPKDF16_PKPDF16_EviT2_lT3_lT_lT4_lS9_li
		.amdhsa_group_segment_fixed_size 0
		.amdhsa_private_segment_fixed_size 0
		.amdhsa_kernarg_size 84
		.amdhsa_user_sgpr_count 14
		.amdhsa_user_sgpr_dispatch_ptr 0
		.amdhsa_user_sgpr_queue_ptr 0
		.amdhsa_user_sgpr_kernarg_segment_ptr 1
		.amdhsa_user_sgpr_dispatch_id 0
		.amdhsa_user_sgpr_private_segment_size 0
		.amdhsa_wavefront_size32 1
		.amdhsa_uses_dynamic_stack 0
		.amdhsa_enable_private_segment 0
		.amdhsa_system_sgpr_workgroup_id_x 1
		.amdhsa_system_sgpr_workgroup_id_y 0
		.amdhsa_system_sgpr_workgroup_id_z 1
		.amdhsa_system_sgpr_workgroup_info 0
		.amdhsa_system_vgpr_workitem_id 0
		.amdhsa_next_free_vgpr 8
		.amdhsa_next_free_sgpr 17
		.amdhsa_reserve_vcc 1
		.amdhsa_float_round_mode_32 0
		.amdhsa_float_round_mode_16_64 0
		.amdhsa_float_denorm_mode_32 3
		.amdhsa_float_denorm_mode_16_64 3
		.amdhsa_dx10_clamp 1
		.amdhsa_ieee_mode 1
		.amdhsa_fp16_overflow 0
		.amdhsa_workgroup_processor_mode 1
		.amdhsa_memory_ordered 1
		.amdhsa_forward_progress 0
		.amdhsa_shared_vgpr_count 0
		.amdhsa_exception_fp_ieee_invalid_op 0
		.amdhsa_exception_fp_denorm_src 0
		.amdhsa_exception_fp_ieee_div_zero 0
		.amdhsa_exception_fp_ieee_overflow 0
		.amdhsa_exception_fp_ieee_underflow 0
		.amdhsa_exception_fp_ieee_inexact 0
		.amdhsa_exception_int_div_zero 0
	.end_amdhsa_kernel
	.section	.text._ZL19rocblas_axpy_kernelIiLi256EfDF16_PKPKDF16_PKPDF16_EviT2_lT3_lT_lT4_lS9_li,"axG",@progbits,_ZL19rocblas_axpy_kernelIiLi256EfDF16_PKPKDF16_PKPDF16_EviT2_lT3_lT_lT4_lS9_li,comdat
.Lfunc_end187:
	.size	_ZL19rocblas_axpy_kernelIiLi256EfDF16_PKPKDF16_PKPDF16_EviT2_lT3_lT_lT4_lS9_li, .Lfunc_end187-_ZL19rocblas_axpy_kernelIiLi256EfDF16_PKPKDF16_PKPDF16_EviT2_lT3_lT_lT4_lS9_li
                                        ; -- End function
	.section	.AMDGPU.csdata,"",@progbits
; Kernel info:
; codeLenInByte = 328
; NumSgprs: 19
; NumVgprs: 8
; ScratchSize: 0
; MemoryBound: 0
; FloatMode: 240
; IeeeMode: 1
; LDSByteSize: 0 bytes/workgroup (compile time only)
; SGPRBlocks: 2
; VGPRBlocks: 0
; NumSGPRsForWavesPerEU: 19
; NumVGPRsForWavesPerEU: 8
; Occupancy: 16
; WaveLimiterHint : 1
; COMPUTE_PGM_RSRC2:SCRATCH_EN: 0
; COMPUTE_PGM_RSRC2:USER_SGPR: 14
; COMPUTE_PGM_RSRC2:TRAP_HANDLER: 0
; COMPUTE_PGM_RSRC2:TGID_X_EN: 1
; COMPUTE_PGM_RSRC2:TGID_Y_EN: 0
; COMPUTE_PGM_RSRC2:TGID_Z_EN: 1
; COMPUTE_PGM_RSRC2:TIDIG_COMP_CNT: 0
	.section	.text._ZL19rocblas_axpy_kernelIlLi256EfPKDF16_PKS1_PKPDF16_EviT2_lT3_lT_lT4_lS9_li,"axG",@progbits,_ZL19rocblas_axpy_kernelIlLi256EfPKDF16_PKS1_PKPDF16_EviT2_lT3_lT_lT4_lS9_li,comdat
	.globl	_ZL19rocblas_axpy_kernelIlLi256EfPKDF16_PKS1_PKPDF16_EviT2_lT3_lT_lT4_lS9_li ; -- Begin function _ZL19rocblas_axpy_kernelIlLi256EfPKDF16_PKS1_PKPDF16_EviT2_lT3_lT_lT4_lS9_li
	.p2align	8
	.type	_ZL19rocblas_axpy_kernelIlLi256EfPKDF16_PKS1_PKPDF16_EviT2_lT3_lT_lT4_lS9_li,@function
_ZL19rocblas_axpy_kernelIlLi256EfPKDF16_PKS1_PKPDF16_EviT2_lT3_lT_lT4_lS9_li: ; @_ZL19rocblas_axpy_kernelIlLi256EfPKDF16_PKS1_PKPDF16_EviT2_lT3_lT_lT4_lS9_li
; %bb.0:
	s_clause 0x1
	s_load_b128 s[4:7], s[0:1], 0x8
	s_load_b32 s2, s[0:1], 0x0
	v_mov_b32_e32 v1, 0
	v_lshl_or_b32 v0, s14, 8, v0
	s_mov_b32 s9, 0
	s_waitcnt lgkmcnt(0)
	s_mul_i32 s3, s15, s7
	s_mul_hi_u32 s7, s15, s6
	s_mul_i32 s6, s15, s6
	s_add_i32 s7, s7, s3
	s_ashr_i32 s3, s2, 31
	s_lshl_b64 s[6:7], s[6:7], 1
	v_cmp_gt_i64_e32 vcc_lo, s[2:3], v[0:1]
	s_add_u32 s4, s4, s6
	s_addc_u32 s5, s5, s7
	global_load_u16 v2, v1, s[4:5]
	s_waitcnt vmcnt(0)
	v_cmp_neq_f16_e64 s2, 0, v2
	s_delay_alu instid0(VALU_DEP_1) | instskip(NEXT) | instid1(SALU_CYCLE_1)
	s_and_b32 s2, vcc_lo, s2
	s_and_saveexec_b32 s3, s2
	s_cbranch_execz .LBB188_2
; %bb.1:
	s_clause 0x1
	s_load_b64 s[2:3], s[0:1], 0x18
	s_load_b128 s[4:7], s[0:1], 0x40
	s_mov_b32 s8, s15
	s_delay_alu instid0(SALU_CYCLE_1)
	s_lshl_b64 s[12:13], s[8:9], 3
	s_load_b128 s[8:11], s[0:1], 0x20
	s_waitcnt lgkmcnt(0)
	s_add_u32 s2, s2, s12
	s_addc_u32 s3, s3, s13
	v_mad_u64_u32 v[3:4], null, v0, s6, 0
	s_load_b64 s[2:3], s[2:3], 0x0
	s_load_b64 s[0:1], s[0:1], 0x38
	v_mad_u64_u32 v[5:6], null, v0, s10, 0
	s_lshl_b64 s[8:9], s[8:9], 1
	s_delay_alu instid0(VALU_DEP_1) | instskip(NEXT) | instid1(VALU_DEP_1)
	v_dual_mov_b32 v1, v4 :: v_dual_mov_b32 v4, v6
	v_mad_u64_u32 v[6:7], null, v0, s7, v[1:2]
	s_delay_alu instid0(VALU_DEP_2)
	v_mad_u64_u32 v[7:8], null, v0, s11, v[4:5]
	s_waitcnt lgkmcnt(0)
	s_add_u32 s6, s8, s2
	s_addc_u32 s8, s9, s3
	s_add_u32 s0, s0, s12
	s_addc_u32 s1, s1, s13
	s_delay_alu instid0(VALU_DEP_2) | instskip(SKIP_3) | instid1(VALU_DEP_2)
	v_mov_b32_e32 v4, v6
	s_load_b64 s[0:1], s[0:1], 0x0
	v_mov_b32_e32 v6, v7
	s_lshl_b64 s[2:3], s[4:5], 1
	v_lshlrev_b64 v[0:1], 1, v[3:4]
	s_delay_alu instid0(VALU_DEP_2) | instskip(SKIP_3) | instid1(VALU_DEP_2)
	v_lshlrev_b64 v[3:4], 1, v[5:6]
	s_waitcnt lgkmcnt(0)
	s_add_u32 s0, s2, s0
	s_addc_u32 s1, s3, s1
	v_add_co_u32 v0, vcc_lo, s0, v0
	v_add_co_ci_u32_e32 v1, vcc_lo, s1, v1, vcc_lo
	v_add_co_u32 v3, vcc_lo, s6, v3
	v_add_co_ci_u32_e32 v4, vcc_lo, s8, v4, vcc_lo
	global_load_u16 v5, v[0:1], off
	global_load_u16 v3, v[3:4], off
	s_waitcnt vmcnt(0)
	v_fma_mixlo_f16 v2, v2, v3, v5 op_sel_hi:[1,1,1]
	global_store_b16 v[0:1], v2, off
.LBB188_2:
	s_nop 0
	s_sendmsg sendmsg(MSG_DEALLOC_VGPRS)
	s_endpgm
	.section	.rodata,"a",@progbits
	.p2align	6, 0x0
	.amdhsa_kernel _ZL19rocblas_axpy_kernelIlLi256EfPKDF16_PKS1_PKPDF16_EviT2_lT3_lT_lT4_lS9_li
		.amdhsa_group_segment_fixed_size 0
		.amdhsa_private_segment_fixed_size 0
		.amdhsa_kernarg_size 92
		.amdhsa_user_sgpr_count 14
		.amdhsa_user_sgpr_dispatch_ptr 0
		.amdhsa_user_sgpr_queue_ptr 0
		.amdhsa_user_sgpr_kernarg_segment_ptr 1
		.amdhsa_user_sgpr_dispatch_id 0
		.amdhsa_user_sgpr_private_segment_size 0
		.amdhsa_wavefront_size32 1
		.amdhsa_uses_dynamic_stack 0
		.amdhsa_enable_private_segment 0
		.amdhsa_system_sgpr_workgroup_id_x 1
		.amdhsa_system_sgpr_workgroup_id_y 0
		.amdhsa_system_sgpr_workgroup_id_z 1
		.amdhsa_system_sgpr_workgroup_info 0
		.amdhsa_system_vgpr_workitem_id 0
		.amdhsa_next_free_vgpr 9
		.amdhsa_next_free_sgpr 16
		.amdhsa_reserve_vcc 1
		.amdhsa_float_round_mode_32 0
		.amdhsa_float_round_mode_16_64 0
		.amdhsa_float_denorm_mode_32 3
		.amdhsa_float_denorm_mode_16_64 3
		.amdhsa_dx10_clamp 1
		.amdhsa_ieee_mode 1
		.amdhsa_fp16_overflow 0
		.amdhsa_workgroup_processor_mode 1
		.amdhsa_memory_ordered 1
		.amdhsa_forward_progress 0
		.amdhsa_shared_vgpr_count 0
		.amdhsa_exception_fp_ieee_invalid_op 0
		.amdhsa_exception_fp_denorm_src 0
		.amdhsa_exception_fp_ieee_div_zero 0
		.amdhsa_exception_fp_ieee_overflow 0
		.amdhsa_exception_fp_ieee_underflow 0
		.amdhsa_exception_fp_ieee_inexact 0
		.amdhsa_exception_int_div_zero 0
	.end_amdhsa_kernel
	.section	.text._ZL19rocblas_axpy_kernelIlLi256EfPKDF16_PKS1_PKPDF16_EviT2_lT3_lT_lT4_lS9_li,"axG",@progbits,_ZL19rocblas_axpy_kernelIlLi256EfPKDF16_PKS1_PKPDF16_EviT2_lT3_lT_lT4_lS9_li,comdat
.Lfunc_end188:
	.size	_ZL19rocblas_axpy_kernelIlLi256EfPKDF16_PKS1_PKPDF16_EviT2_lT3_lT_lT4_lS9_li, .Lfunc_end188-_ZL19rocblas_axpy_kernelIlLi256EfPKDF16_PKS1_PKPDF16_EviT2_lT3_lT_lT4_lS9_li
                                        ; -- End function
	.section	.AMDGPU.csdata,"",@progbits
; Kernel info:
; codeLenInByte = 380
; NumSgprs: 18
; NumVgprs: 9
; ScratchSize: 0
; MemoryBound: 0
; FloatMode: 240
; IeeeMode: 1
; LDSByteSize: 0 bytes/workgroup (compile time only)
; SGPRBlocks: 2
; VGPRBlocks: 1
; NumSGPRsForWavesPerEU: 18
; NumVGPRsForWavesPerEU: 9
; Occupancy: 16
; WaveLimiterHint : 1
; COMPUTE_PGM_RSRC2:SCRATCH_EN: 0
; COMPUTE_PGM_RSRC2:USER_SGPR: 14
; COMPUTE_PGM_RSRC2:TRAP_HANDLER: 0
; COMPUTE_PGM_RSRC2:TGID_X_EN: 1
; COMPUTE_PGM_RSRC2:TGID_Y_EN: 0
; COMPUTE_PGM_RSRC2:TGID_Z_EN: 1
; COMPUTE_PGM_RSRC2:TIDIG_COMP_CNT: 0
	.section	.text._ZL19rocblas_axpy_kernelIlLi256EfDF16_PKPKDF16_PKPDF16_EviT2_lT3_lT_lT4_lS9_li,"axG",@progbits,_ZL19rocblas_axpy_kernelIlLi256EfDF16_PKPKDF16_PKPDF16_EviT2_lT3_lT_lT4_lS9_li,comdat
	.globl	_ZL19rocblas_axpy_kernelIlLi256EfDF16_PKPKDF16_PKPDF16_EviT2_lT3_lT_lT4_lS9_li ; -- Begin function _ZL19rocblas_axpy_kernelIlLi256EfDF16_PKPKDF16_PKPDF16_EviT2_lT3_lT_lT4_lS9_li
	.p2align	8
	.type	_ZL19rocblas_axpy_kernelIlLi256EfDF16_PKPKDF16_PKPDF16_EviT2_lT3_lT_lT4_lS9_li,@function
_ZL19rocblas_axpy_kernelIlLi256EfDF16_PKPKDF16_PKPDF16_EviT2_lT3_lT_lT4_lS9_li: ; @_ZL19rocblas_axpy_kernelIlLi256EfDF16_PKPKDF16_PKPDF16_EviT2_lT3_lT_lT4_lS9_li
; %bb.0:
	s_load_b64 s[2:3], s[0:1], 0x0
	v_mov_b32_e32 v1, 0
	v_lshl_or_b32 v0, s14, 8, v0
	s_mov_b32 s9, 0
	s_waitcnt lgkmcnt(0)
	s_ashr_i32 s5, s2, 31
	s_mov_b32 s4, s2
	v_cmp_neq_f16_e64 s2, s3, 0
	v_cmp_gt_i64_e32 vcc_lo, s[4:5], v[0:1]
	s_delay_alu instid0(VALU_DEP_2) | instskip(NEXT) | instid1(SALU_CYCLE_1)
	s_and_b32 s2, s2, vcc_lo
	s_and_saveexec_b32 s4, s2
	s_cbranch_execz .LBB189_2
; %bb.1:
	s_clause 0x1
	s_load_b64 s[12:13], s[0:1], 0x10
	s_load_b128 s[4:7], s[0:1], 0x38
	s_mov_b32 s8, s15
	s_delay_alu instid0(SALU_CYCLE_1)
	s_lshl_b64 s[14:15], s[8:9], 3
	s_load_b128 s[8:11], s[0:1], 0x18
	s_waitcnt lgkmcnt(0)
	s_add_u32 s12, s12, s14
	s_addc_u32 s13, s13, s15
	v_mad_u64_u32 v[1:2], null, v0, s6, 0
	s_load_b64 s[12:13], s[12:13], 0x0
	s_load_b64 s[0:1], s[0:1], 0x30
	v_mad_u64_u32 v[3:4], null, v0, s10, 0
	s_lshl_b64 s[8:9], s[8:9], 1
	s_delay_alu instid0(VALU_DEP_1) | instskip(NEXT) | instid1(VALU_DEP_1)
	v_mad_u64_u32 v[5:6], null, v0, s7, v[2:3]
	v_mad_u64_u32 v[6:7], null, v0, s11, v[4:5]
	s_waitcnt lgkmcnt(0)
	s_add_u32 s2, s8, s12
	s_addc_u32 s6, s9, s13
	s_add_u32 s0, s0, s14
	s_addc_u32 s1, s1, s15
	v_mov_b32_e32 v2, v5
	s_load_b64 s[0:1], s[0:1], 0x0
	v_mov_b32_e32 v4, v6
	s_lshl_b64 s[4:5], s[4:5], 1
	s_delay_alu instid0(VALU_DEP_2) | instskip(NEXT) | instid1(VALU_DEP_2)
	v_lshlrev_b64 v[0:1], 1, v[1:2]
	v_lshlrev_b64 v[2:3], 1, v[3:4]
	s_waitcnt lgkmcnt(0)
	s_add_u32 s0, s4, s0
	s_addc_u32 s1, s5, s1
	s_delay_alu instid0(VALU_DEP_2)
	v_add_co_u32 v0, vcc_lo, s0, v0
	v_add_co_ci_u32_e32 v1, vcc_lo, s1, v1, vcc_lo
	v_add_co_u32 v2, vcc_lo, s2, v2
	v_add_co_ci_u32_e32 v3, vcc_lo, s6, v3, vcc_lo
	global_load_u16 v4, v[0:1], off
	global_load_u16 v2, v[2:3], off
	s_waitcnt vmcnt(0)
	v_fma_mixlo_f16 v2, s3, v2, v4 op_sel_hi:[1,1,1]
	global_store_b16 v[0:1], v2, off
.LBB189_2:
	s_nop 0
	s_sendmsg sendmsg(MSG_DEALLOC_VGPRS)
	s_endpgm
	.section	.rodata,"a",@progbits
	.p2align	6, 0x0
	.amdhsa_kernel _ZL19rocblas_axpy_kernelIlLi256EfDF16_PKPKDF16_PKPDF16_EviT2_lT3_lT_lT4_lS9_li
		.amdhsa_group_segment_fixed_size 0
		.amdhsa_private_segment_fixed_size 0
		.amdhsa_kernarg_size 84
		.amdhsa_user_sgpr_count 14
		.amdhsa_user_sgpr_dispatch_ptr 0
		.amdhsa_user_sgpr_queue_ptr 0
		.amdhsa_user_sgpr_kernarg_segment_ptr 1
		.amdhsa_user_sgpr_dispatch_id 0
		.amdhsa_user_sgpr_private_segment_size 0
		.amdhsa_wavefront_size32 1
		.amdhsa_uses_dynamic_stack 0
		.amdhsa_enable_private_segment 0
		.amdhsa_system_sgpr_workgroup_id_x 1
		.amdhsa_system_sgpr_workgroup_id_y 0
		.amdhsa_system_sgpr_workgroup_id_z 1
		.amdhsa_system_sgpr_workgroup_info 0
		.amdhsa_system_vgpr_workitem_id 0
		.amdhsa_next_free_vgpr 8
		.amdhsa_next_free_sgpr 16
		.amdhsa_reserve_vcc 1
		.amdhsa_float_round_mode_32 0
		.amdhsa_float_round_mode_16_64 0
		.amdhsa_float_denorm_mode_32 3
		.amdhsa_float_denorm_mode_16_64 3
		.amdhsa_dx10_clamp 1
		.amdhsa_ieee_mode 1
		.amdhsa_fp16_overflow 0
		.amdhsa_workgroup_processor_mode 1
		.amdhsa_memory_ordered 1
		.amdhsa_forward_progress 0
		.amdhsa_shared_vgpr_count 0
		.amdhsa_exception_fp_ieee_invalid_op 0
		.amdhsa_exception_fp_denorm_src 0
		.amdhsa_exception_fp_ieee_div_zero 0
		.amdhsa_exception_fp_ieee_overflow 0
		.amdhsa_exception_fp_ieee_underflow 0
		.amdhsa_exception_fp_ieee_inexact 0
		.amdhsa_exception_int_div_zero 0
	.end_amdhsa_kernel
	.section	.text._ZL19rocblas_axpy_kernelIlLi256EfDF16_PKPKDF16_PKPDF16_EviT2_lT3_lT_lT4_lS9_li,"axG",@progbits,_ZL19rocblas_axpy_kernelIlLi256EfDF16_PKPKDF16_PKPDF16_EviT2_lT3_lT_lT4_lS9_li,comdat
.Lfunc_end189:
	.size	_ZL19rocblas_axpy_kernelIlLi256EfDF16_PKPKDF16_PKPDF16_EviT2_lT3_lT_lT4_lS9_li, .Lfunc_end189-_ZL19rocblas_axpy_kernelIlLi256EfDF16_PKPKDF16_PKPDF16_EviT2_lT3_lT_lT4_lS9_li
                                        ; -- End function
	.section	.AMDGPU.csdata,"",@progbits
; Kernel info:
; codeLenInByte = 320
; NumSgprs: 18
; NumVgprs: 8
; ScratchSize: 0
; MemoryBound: 0
; FloatMode: 240
; IeeeMode: 1
; LDSByteSize: 0 bytes/workgroup (compile time only)
; SGPRBlocks: 2
; VGPRBlocks: 0
; NumSGPRsForWavesPerEU: 18
; NumVGPRsForWavesPerEU: 8
; Occupancy: 16
; WaveLimiterHint : 1
; COMPUTE_PGM_RSRC2:SCRATCH_EN: 0
; COMPUTE_PGM_RSRC2:USER_SGPR: 14
; COMPUTE_PGM_RSRC2:TRAP_HANDLER: 0
; COMPUTE_PGM_RSRC2:TGID_X_EN: 1
; COMPUTE_PGM_RSRC2:TGID_Y_EN: 0
; COMPUTE_PGM_RSRC2:TGID_Z_EN: 1
; COMPUTE_PGM_RSRC2:TIDIG_COMP_CNT: 0
	.section	.text._ZL26rocblas_haxpy_mod_8_kernelILi256EPKfPKPKDF16_PKPDF16_EviT0_lT1_llT2_lli,"axG",@progbits,_ZL26rocblas_haxpy_mod_8_kernelILi256EPKfPKPKDF16_PKPDF16_EviT0_lT1_llT2_lli,comdat
	.globl	_ZL26rocblas_haxpy_mod_8_kernelILi256EPKfPKPKDF16_PKPDF16_EviT0_lT1_llT2_lli ; -- Begin function _ZL26rocblas_haxpy_mod_8_kernelILi256EPKfPKPKDF16_PKPDF16_EviT0_lT1_llT2_lli
	.p2align	8
	.type	_ZL26rocblas_haxpy_mod_8_kernelILi256EPKfPKPKDF16_PKPDF16_EviT0_lT1_llT2_lli,@function
_ZL26rocblas_haxpy_mod_8_kernelILi256EPKfPKPKDF16_PKPDF16_EviT0_lT1_llT2_lli: ; @_ZL26rocblas_haxpy_mod_8_kernelILi256EPKfPKPKDF16_PKPDF16_EviT0_lT1_llT2_lli
; %bb.0:
	s_clause 0x1
	s_load_b256 s[4:11], s[0:1], 0x8
	s_load_b32 s12, s[0:1], 0x0
	v_lshl_or_b32 v0, s14, 8, v0
	v_mov_b32_e32 v1, 0
	s_waitcnt lgkmcnt(0)
	s_mul_i32 s3, s15, s7
	s_mul_hi_u32 s7, s15, s6
	s_mul_i32 s6, s15, s6
	s_add_i32 s7, s7, s3
	s_ashr_i32 s13, s12, 31
	s_lshl_b64 s[6:7], s[6:7], 2
	v_cmp_gt_i64_e32 vcc_lo, s[12:13], v[0:1]
	s_add_u32 s4, s4, s6
	s_addc_u32 s5, s5, s7
	s_mov_b32 s3, 0
	s_load_b32 s4, s[4:5], 0x0
	s_waitcnt lgkmcnt(0)
	v_cmp_neq_f32_e64 s5, s4, 0
	s_delay_alu instid0(VALU_DEP_1) | instskip(NEXT) | instid1(SALU_CYCLE_1)
	s_and_b32 s5, vcc_lo, s5
	s_and_saveexec_b32 s6, s5
	s_cbranch_execz .LBB190_2
; %bb.1:
	s_mov_b32 s2, s15
	v_lshlrev_b64 v[0:1], 1, v[0:1]
	s_lshl_b64 s[6:7], s[2:3], 3
	s_delay_alu instid0(SALU_CYCLE_1)
	s_add_u32 s2, s8, s6
	s_addc_u32 s3, s9, s7
	s_lshl_b64 s[10:11], s[10:11], 1
	s_load_b64 s[8:9], s[2:3], 0x0
	s_load_b128 s[0:3], s[0:1], 0x30
	s_waitcnt lgkmcnt(0)
	s_add_u32 s5, s10, s8
	s_addc_u32 s8, s11, s9
	s_add_u32 s0, s0, s6
	s_addc_u32 s1, s1, s7
	s_lshl_b64 s[2:3], s[2:3], 1
	s_load_b64 s[0:1], s[0:1], 0x0
	v_add_co_u32 v2, vcc_lo, s5, v0
	v_add_co_ci_u32_e32 v3, vcc_lo, s8, v1, vcc_lo
	s_waitcnt lgkmcnt(0)
	s_add_u32 s0, s2, s0
	s_addc_u32 s1, s3, s1
	v_add_co_u32 v0, vcc_lo, s0, v0
	v_add_co_ci_u32_e32 v1, vcc_lo, s1, v1, vcc_lo
	global_load_u16 v2, v[2:3], off
	global_load_u16 v3, v[0:1], off
	s_waitcnt vmcnt(0)
	v_fma_mixlo_f16 v2, s4, v2, v3 op_sel_hi:[0,1,1]
	global_store_b16 v[0:1], v2, off
.LBB190_2:
	s_nop 0
	s_sendmsg sendmsg(MSG_DEALLOC_VGPRS)
	s_endpgm
	.section	.rodata,"a",@progbits
	.p2align	6, 0x0
	.amdhsa_kernel _ZL26rocblas_haxpy_mod_8_kernelILi256EPKfPKPKDF16_PKPDF16_EviT0_lT1_llT2_lli
		.amdhsa_group_segment_fixed_size 0
		.amdhsa_private_segment_fixed_size 0
		.amdhsa_kernarg_size 76
		.amdhsa_user_sgpr_count 14
		.amdhsa_user_sgpr_dispatch_ptr 0
		.amdhsa_user_sgpr_queue_ptr 0
		.amdhsa_user_sgpr_kernarg_segment_ptr 1
		.amdhsa_user_sgpr_dispatch_id 0
		.amdhsa_user_sgpr_private_segment_size 0
		.amdhsa_wavefront_size32 1
		.amdhsa_uses_dynamic_stack 0
		.amdhsa_enable_private_segment 0
		.amdhsa_system_sgpr_workgroup_id_x 1
		.amdhsa_system_sgpr_workgroup_id_y 0
		.amdhsa_system_sgpr_workgroup_id_z 1
		.amdhsa_system_sgpr_workgroup_info 0
		.amdhsa_system_vgpr_workitem_id 0
		.amdhsa_next_free_vgpr 4
		.amdhsa_next_free_sgpr 16
		.amdhsa_reserve_vcc 1
		.amdhsa_float_round_mode_32 0
		.amdhsa_float_round_mode_16_64 0
		.amdhsa_float_denorm_mode_32 3
		.amdhsa_float_denorm_mode_16_64 3
		.amdhsa_dx10_clamp 1
		.amdhsa_ieee_mode 1
		.amdhsa_fp16_overflow 0
		.amdhsa_workgroup_processor_mode 1
		.amdhsa_memory_ordered 1
		.amdhsa_forward_progress 0
		.amdhsa_shared_vgpr_count 0
		.amdhsa_exception_fp_ieee_invalid_op 0
		.amdhsa_exception_fp_denorm_src 0
		.amdhsa_exception_fp_ieee_div_zero 0
		.amdhsa_exception_fp_ieee_overflow 0
		.amdhsa_exception_fp_ieee_underflow 0
		.amdhsa_exception_fp_ieee_inexact 0
		.amdhsa_exception_int_div_zero 0
	.end_amdhsa_kernel
	.section	.text._ZL26rocblas_haxpy_mod_8_kernelILi256EPKfPKPKDF16_PKPDF16_EviT0_lT1_llT2_lli,"axG",@progbits,_ZL26rocblas_haxpy_mod_8_kernelILi256EPKfPKPKDF16_PKPDF16_EviT0_lT1_llT2_lli,comdat
.Lfunc_end190:
	.size	_ZL26rocblas_haxpy_mod_8_kernelILi256EPKfPKPKDF16_PKPDF16_EviT0_lT1_llT2_lli, .Lfunc_end190-_ZL26rocblas_haxpy_mod_8_kernelILi256EPKfPKPKDF16_PKPDF16_EviT0_lT1_llT2_lli
                                        ; -- End function
	.section	.AMDGPU.csdata,"",@progbits
; Kernel info:
; codeLenInByte = 276
; NumSgprs: 18
; NumVgprs: 4
; ScratchSize: 0
; MemoryBound: 0
; FloatMode: 240
; IeeeMode: 1
; LDSByteSize: 0 bytes/workgroup (compile time only)
; SGPRBlocks: 2
; VGPRBlocks: 0
; NumSGPRsForWavesPerEU: 18
; NumVGPRsForWavesPerEU: 4
; Occupancy: 16
; WaveLimiterHint : 1
; COMPUTE_PGM_RSRC2:SCRATCH_EN: 0
; COMPUTE_PGM_RSRC2:USER_SGPR: 14
; COMPUTE_PGM_RSRC2:TRAP_HANDLER: 0
; COMPUTE_PGM_RSRC2:TGID_X_EN: 1
; COMPUTE_PGM_RSRC2:TGID_Y_EN: 0
; COMPUTE_PGM_RSRC2:TGID_Z_EN: 1
; COMPUTE_PGM_RSRC2:TIDIG_COMP_CNT: 0
	.section	.text._ZL26rocblas_haxpy_mod_8_kernelILi256EfPKPKDF16_PKPDF16_EviT0_lT1_llT2_lli,"axG",@progbits,_ZL26rocblas_haxpy_mod_8_kernelILi256EfPKPKDF16_PKPDF16_EviT0_lT1_llT2_lli,comdat
	.globl	_ZL26rocblas_haxpy_mod_8_kernelILi256EfPKPKDF16_PKPDF16_EviT0_lT1_llT2_lli ; -- Begin function _ZL26rocblas_haxpy_mod_8_kernelILi256EfPKPKDF16_PKPDF16_EviT0_lT1_llT2_lli
	.p2align	8
	.type	_ZL26rocblas_haxpy_mod_8_kernelILi256EfPKPKDF16_PKPDF16_EviT0_lT1_llT2_lli,@function
_ZL26rocblas_haxpy_mod_8_kernelILi256EfPKPKDF16_PKPDF16_EviT0_lT1_llT2_lli: ; @_ZL26rocblas_haxpy_mod_8_kernelILi256EfPKPKDF16_PKPDF16_EviT0_lT1_llT2_lli
; %bb.0:
	s_load_b64 s[2:3], s[0:1], 0x0
	v_mov_b32_e32 v1, 0
	v_lshl_or_b32 v0, s14, 8, v0
	s_mov_b32 s5, 0
	s_waitcnt lgkmcnt(0)
	s_ashr_i32 s7, s2, 31
	s_mov_b32 s6, s2
	v_cmp_neq_f32_e64 s2, s3, 0
	v_cmp_gt_i64_e32 vcc_lo, s[6:7], v[0:1]
	s_delay_alu instid0(VALU_DEP_2) | instskip(NEXT) | instid1(SALU_CYCLE_1)
	s_and_b32 s2, s2, vcc_lo
	s_and_saveexec_b32 s6, s2
	s_cbranch_execz .LBB191_2
; %bb.1:
	s_load_b128 s[8:11], s[0:1], 0x10
	s_mov_b32 s4, s15
	v_lshlrev_b64 v[0:1], 1, v[0:1]
	s_lshl_b64 s[12:13], s[4:5], 3
	s_load_b128 s[4:7], s[0:1], 0x28
	s_waitcnt lgkmcnt(0)
	s_add_u32 s0, s8, s12
	s_addc_u32 s1, s9, s13
	s_lshl_b64 s[8:9], s[10:11], 1
	s_load_b64 s[0:1], s[0:1], 0x0
	s_waitcnt lgkmcnt(0)
	s_add_u32 s2, s8, s0
	s_addc_u32 s8, s9, s1
	s_add_u32 s0, s4, s12
	s_addc_u32 s1, s5, s13
	s_lshl_b64 s[4:5], s[6:7], 1
	s_load_b64 s[0:1], s[0:1], 0x0
	v_add_co_u32 v2, vcc_lo, s2, v0
	v_add_co_ci_u32_e32 v3, vcc_lo, s8, v1, vcc_lo
	s_waitcnt lgkmcnt(0)
	s_add_u32 s0, s4, s0
	s_addc_u32 s1, s5, s1
	v_add_co_u32 v0, vcc_lo, s0, v0
	v_add_co_ci_u32_e32 v1, vcc_lo, s1, v1, vcc_lo
	global_load_u16 v2, v[2:3], off
	global_load_u16 v3, v[0:1], off
	s_waitcnt vmcnt(0)
	v_fma_mixlo_f16 v2, v2, s3, v3 op_sel_hi:[1,0,1]
	global_store_b16 v[0:1], v2, off
.LBB191_2:
	s_nop 0
	s_sendmsg sendmsg(MSG_DEALLOC_VGPRS)
	s_endpgm
	.section	.rodata,"a",@progbits
	.p2align	6, 0x0
	.amdhsa_kernel _ZL26rocblas_haxpy_mod_8_kernelILi256EfPKPKDF16_PKPDF16_EviT0_lT1_llT2_lli
		.amdhsa_group_segment_fixed_size 0
		.amdhsa_private_segment_fixed_size 0
		.amdhsa_kernarg_size 68
		.amdhsa_user_sgpr_count 14
		.amdhsa_user_sgpr_dispatch_ptr 0
		.amdhsa_user_sgpr_queue_ptr 0
		.amdhsa_user_sgpr_kernarg_segment_ptr 1
		.amdhsa_user_sgpr_dispatch_id 0
		.amdhsa_user_sgpr_private_segment_size 0
		.amdhsa_wavefront_size32 1
		.amdhsa_uses_dynamic_stack 0
		.amdhsa_enable_private_segment 0
		.amdhsa_system_sgpr_workgroup_id_x 1
		.amdhsa_system_sgpr_workgroup_id_y 0
		.amdhsa_system_sgpr_workgroup_id_z 1
		.amdhsa_system_sgpr_workgroup_info 0
		.amdhsa_system_vgpr_workitem_id 0
		.amdhsa_next_free_vgpr 4
		.amdhsa_next_free_sgpr 16
		.amdhsa_reserve_vcc 1
		.amdhsa_float_round_mode_32 0
		.amdhsa_float_round_mode_16_64 0
		.amdhsa_float_denorm_mode_32 3
		.amdhsa_float_denorm_mode_16_64 3
		.amdhsa_dx10_clamp 1
		.amdhsa_ieee_mode 1
		.amdhsa_fp16_overflow 0
		.amdhsa_workgroup_processor_mode 1
		.amdhsa_memory_ordered 1
		.amdhsa_forward_progress 0
		.amdhsa_shared_vgpr_count 0
		.amdhsa_exception_fp_ieee_invalid_op 0
		.amdhsa_exception_fp_denorm_src 0
		.amdhsa_exception_fp_ieee_div_zero 0
		.amdhsa_exception_fp_ieee_overflow 0
		.amdhsa_exception_fp_ieee_underflow 0
		.amdhsa_exception_fp_ieee_inexact 0
		.amdhsa_exception_int_div_zero 0
	.end_amdhsa_kernel
	.section	.text._ZL26rocblas_haxpy_mod_8_kernelILi256EfPKPKDF16_PKPDF16_EviT0_lT1_llT2_lli,"axG",@progbits,_ZL26rocblas_haxpy_mod_8_kernelILi256EfPKPKDF16_PKPDF16_EviT0_lT1_llT2_lli,comdat
.Lfunc_end191:
	.size	_ZL26rocblas_haxpy_mod_8_kernelILi256EfPKPKDF16_PKPDF16_EviT0_lT1_llT2_lli, .Lfunc_end191-_ZL26rocblas_haxpy_mod_8_kernelILi256EfPKPKDF16_PKPDF16_EviT0_lT1_llT2_lli
                                        ; -- End function
	.section	.AMDGPU.csdata,"",@progbits
; Kernel info:
; codeLenInByte = 236
; NumSgprs: 18
; NumVgprs: 4
; ScratchSize: 0
; MemoryBound: 0
; FloatMode: 240
; IeeeMode: 1
; LDSByteSize: 0 bytes/workgroup (compile time only)
; SGPRBlocks: 2
; VGPRBlocks: 0
; NumSGPRsForWavesPerEU: 18
; NumVGPRsForWavesPerEU: 4
; Occupancy: 16
; WaveLimiterHint : 1
; COMPUTE_PGM_RSRC2:SCRATCH_EN: 0
; COMPUTE_PGM_RSRC2:USER_SGPR: 14
; COMPUTE_PGM_RSRC2:TRAP_HANDLER: 0
; COMPUTE_PGM_RSRC2:TGID_X_EN: 1
; COMPUTE_PGM_RSRC2:TGID_Y_EN: 0
; COMPUTE_PGM_RSRC2:TGID_Z_EN: 1
; COMPUTE_PGM_RSRC2:TIDIG_COMP_CNT: 0
	.section	.text._ZL22rocblas_saxpy_2_kernelILi256EfPKfPKPKDF16_PKPDF16_EviT1_lT2_llT3_lli,"axG",@progbits,_ZL22rocblas_saxpy_2_kernelILi256EfPKfPKPKDF16_PKPDF16_EviT1_lT2_llT3_lli,comdat
	.globl	_ZL22rocblas_saxpy_2_kernelILi256EfPKfPKPKDF16_PKPDF16_EviT1_lT2_llT3_lli ; -- Begin function _ZL22rocblas_saxpy_2_kernelILi256EfPKfPKPKDF16_PKPDF16_EviT1_lT2_llT3_lli
	.p2align	8
	.type	_ZL22rocblas_saxpy_2_kernelILi256EfPKfPKPKDF16_PKPDF16_EviT1_lT2_llT3_lli,@function
_ZL22rocblas_saxpy_2_kernelILi256EfPKfPKPKDF16_PKPDF16_EviT1_lT2_llT3_lli: ; @_ZL22rocblas_saxpy_2_kernelILi256EfPKfPKPKDF16_PKPDF16_EviT1_lT2_llT3_lli
; %bb.0:
	s_load_b128 s[4:7], s[0:1], 0x8
	s_waitcnt lgkmcnt(0)
	s_mul_i32 s3, s15, s7
	s_mul_hi_u32 s7, s15, s6
	s_mul_i32 s6, s15, s6
	s_add_i32 s7, s7, s3
	s_delay_alu instid0(SALU_CYCLE_1) | instskip(NEXT) | instid1(SALU_CYCLE_1)
	s_lshl_b64 s[6:7], s[6:7], 2
	s_add_u32 s4, s4, s6
	s_addc_u32 s5, s5, s7
	s_load_b32 s4, s[4:5], 0x0
	s_waitcnt lgkmcnt(0)
	v_cmp_eq_f32_e64 s3, s4, 0
	s_delay_alu instid0(VALU_DEP_1)
	s_and_b32 vcc_lo, exec_lo, s3
	s_mov_b32 s3, 0
	s_cbranch_vccnz .LBB192_5
; %bb.1:
	s_clause 0x1
	s_load_b128 s[8:11], s[0:1], 0x18
	s_load_b32 s5, s[0:1], 0x0
	s_mov_b32 s2, s15
	v_dual_mov_b32 v3, 0 :: v_dual_lshlrev_b32 v0, 1, v0
	s_lshl_b64 s[6:7], s[2:3], 3
	s_delay_alu instid0(VALU_DEP_1) | instskip(NEXT) | instid1(VALU_DEP_1)
	v_lshl_or_b32 v2, s14, 9, v0
	v_lshlrev_b64 v[0:1], 1, v[2:3]
	s_waitcnt lgkmcnt(0)
	s_add_u32 s2, s8, s6
	s_addc_u32 s3, s9, s7
	s_mov_b32 s8, exec_lo
	s_load_b64 s[2:3], s[2:3], 0x0
	s_load_b128 s[16:19], s[0:1], 0x30
	s_lshl_b64 s[0:1], s[10:11], 1
	s_waitcnt lgkmcnt(0)
	s_add_u32 s2, s2, s0
	s_addc_u32 s3, s3, s1
	s_add_u32 s0, s16, s6
	s_addc_u32 s1, s17, s7
	s_lshl_b64 s[6:7], s[18:19], 1
	s_load_b64 s[0:1], s[0:1], 0x0
	s_waitcnt lgkmcnt(0)
	s_add_u32 s6, s0, s6
	s_addc_u32 s7, s1, s7
	s_add_i32 s0, s5, -1
	s_delay_alu instid0(SALU_CYCLE_1) | instskip(NEXT) | instid1(SALU_CYCLE_1)
	s_ashr_i32 s1, s0, 31
	v_cmpx_gt_i64_e64 s[0:1], v[2:3]
	s_cbranch_execz .LBB192_3
; %bb.2:
	v_add_co_u32 v4, vcc_lo, s6, v0
	v_add_co_ci_u32_e32 v5, vcc_lo, s7, v1, vcc_lo
	v_add_co_u32 v6, vcc_lo, s2, v0
	v_add_co_ci_u32_e32 v7, vcc_lo, s3, v1, vcc_lo
	global_load_b32 v8, v[4:5], off
	global_load_u16 v9, v[6:7], off
	s_waitcnt vmcnt(0)
	v_fma_mixlo_f16 v9, s4, v9, v8 op_sel_hi:[0,1,1]
	global_store_b16 v[4:5], v9, off
	global_load_u16 v6, v[6:7], off offset:2
	s_waitcnt vmcnt(0)
	v_fma_mixlo_f16 v6, s4, v6, v8 op_sel:[0,0,1] op_sel_hi:[0,1,1]
	global_store_b16 v[4:5], v6, off offset:2
.LBB192_3:
	s_or_b32 exec_lo, exec_lo, s8
	v_cmp_eq_u64_e32 vcc_lo, s[0:1], v[2:3]
	s_bitcmp1_b32 s5, 0
	s_cselect_b32 s0, -1, 0
	s_delay_alu instid0(SALU_CYCLE_1) | instskip(NEXT) | instid1(SALU_CYCLE_1)
	s_and_b32 s0, s0, vcc_lo
	s_and_saveexec_b32 s1, s0
	s_cbranch_execz .LBB192_5
; %bb.4:
	v_add_co_u32 v2, vcc_lo, s6, v0
	v_add_co_ci_u32_e32 v3, vcc_lo, s7, v1, vcc_lo
	v_add_co_u32 v0, vcc_lo, s2, v0
	v_add_co_ci_u32_e32 v1, vcc_lo, s3, v1, vcc_lo
	global_load_u16 v4, v[2:3], off
	global_load_u16 v0, v[0:1], off
	s_waitcnt vmcnt(0)
	v_fma_mixlo_f16 v0, s4, v0, v4 op_sel_hi:[0,1,1]
	global_store_b16 v[2:3], v0, off
.LBB192_5:
	s_nop 0
	s_sendmsg sendmsg(MSG_DEALLOC_VGPRS)
	s_endpgm
	.section	.rodata,"a",@progbits
	.p2align	6, 0x0
	.amdhsa_kernel _ZL22rocblas_saxpy_2_kernelILi256EfPKfPKPKDF16_PKPDF16_EviT1_lT2_llT3_lli
		.amdhsa_group_segment_fixed_size 0
		.amdhsa_private_segment_fixed_size 0
		.amdhsa_kernarg_size 76
		.amdhsa_user_sgpr_count 14
		.amdhsa_user_sgpr_dispatch_ptr 0
		.amdhsa_user_sgpr_queue_ptr 0
		.amdhsa_user_sgpr_kernarg_segment_ptr 1
		.amdhsa_user_sgpr_dispatch_id 0
		.amdhsa_user_sgpr_private_segment_size 0
		.amdhsa_wavefront_size32 1
		.amdhsa_uses_dynamic_stack 0
		.amdhsa_enable_private_segment 0
		.amdhsa_system_sgpr_workgroup_id_x 1
		.amdhsa_system_sgpr_workgroup_id_y 0
		.amdhsa_system_sgpr_workgroup_id_z 1
		.amdhsa_system_sgpr_workgroup_info 0
		.amdhsa_system_vgpr_workitem_id 0
		.amdhsa_next_free_vgpr 10
		.amdhsa_next_free_sgpr 20
		.amdhsa_reserve_vcc 1
		.amdhsa_float_round_mode_32 0
		.amdhsa_float_round_mode_16_64 0
		.amdhsa_float_denorm_mode_32 3
		.amdhsa_float_denorm_mode_16_64 3
		.amdhsa_dx10_clamp 1
		.amdhsa_ieee_mode 1
		.amdhsa_fp16_overflow 0
		.amdhsa_workgroup_processor_mode 1
		.amdhsa_memory_ordered 1
		.amdhsa_forward_progress 0
		.amdhsa_shared_vgpr_count 0
		.amdhsa_exception_fp_ieee_invalid_op 0
		.amdhsa_exception_fp_denorm_src 0
		.amdhsa_exception_fp_ieee_div_zero 0
		.amdhsa_exception_fp_ieee_overflow 0
		.amdhsa_exception_fp_ieee_underflow 0
		.amdhsa_exception_fp_ieee_inexact 0
		.amdhsa_exception_int_div_zero 0
	.end_amdhsa_kernel
	.section	.text._ZL22rocblas_saxpy_2_kernelILi256EfPKfPKPKDF16_PKPDF16_EviT1_lT2_llT3_lli,"axG",@progbits,_ZL22rocblas_saxpy_2_kernelILi256EfPKfPKPKDF16_PKPDF16_EviT1_lT2_llT3_lli,comdat
.Lfunc_end192:
	.size	_ZL22rocblas_saxpy_2_kernelILi256EfPKfPKPKDF16_PKPDF16_EviT1_lT2_llT3_lli, .Lfunc_end192-_ZL22rocblas_saxpy_2_kernelILi256EfPKfPKPKDF16_PKPDF16_EviT1_lT2_llT3_lli
                                        ; -- End function
	.section	.AMDGPU.csdata,"",@progbits
; Kernel info:
; codeLenInByte = 432
; NumSgprs: 22
; NumVgprs: 10
; ScratchSize: 0
; MemoryBound: 0
; FloatMode: 240
; IeeeMode: 1
; LDSByteSize: 0 bytes/workgroup (compile time only)
; SGPRBlocks: 2
; VGPRBlocks: 1
; NumSGPRsForWavesPerEU: 22
; NumVGPRsForWavesPerEU: 10
; Occupancy: 16
; WaveLimiterHint : 1
; COMPUTE_PGM_RSRC2:SCRATCH_EN: 0
; COMPUTE_PGM_RSRC2:USER_SGPR: 14
; COMPUTE_PGM_RSRC2:TRAP_HANDLER: 0
; COMPUTE_PGM_RSRC2:TGID_X_EN: 1
; COMPUTE_PGM_RSRC2:TGID_Y_EN: 0
; COMPUTE_PGM_RSRC2:TGID_Z_EN: 1
; COMPUTE_PGM_RSRC2:TIDIG_COMP_CNT: 0
	.section	.text._ZL22rocblas_saxpy_2_kernelILi256EffPKPKDF16_PKPDF16_EviT1_lT2_llT3_lli,"axG",@progbits,_ZL22rocblas_saxpy_2_kernelILi256EffPKPKDF16_PKPDF16_EviT1_lT2_llT3_lli,comdat
	.globl	_ZL22rocblas_saxpy_2_kernelILi256EffPKPKDF16_PKPDF16_EviT1_lT2_llT3_lli ; -- Begin function _ZL22rocblas_saxpy_2_kernelILi256EffPKPKDF16_PKPDF16_EviT1_lT2_llT3_lli
	.p2align	8
	.type	_ZL22rocblas_saxpy_2_kernelILi256EffPKPKDF16_PKPDF16_EviT1_lT2_llT3_lli,@function
_ZL22rocblas_saxpy_2_kernelILi256EffPKPKDF16_PKPDF16_EviT1_lT2_llT3_lli: ; @_ZL22rocblas_saxpy_2_kernelILi256EffPKPKDF16_PKPDF16_EviT1_lT2_llT3_lli
; %bb.0:
	s_load_b64 s[2:3], s[0:1], 0x0
	s_waitcnt lgkmcnt(0)
	v_cmp_eq_f32_e64 s5, s3, 0
	s_delay_alu instid0(VALU_DEP_1)
	s_and_b32 vcc_lo, exec_lo, s5
	s_mov_b32 s5, 0
	s_cbranch_vccnz .LBB193_5
; %bb.1:
	s_clause 0x1
	s_load_b128 s[8:11], s[0:1], 0x10
	s_load_b128 s[16:19], s[0:1], 0x28
	s_mov_b32 s4, s15
	v_dual_mov_b32 v3, 0 :: v_dual_lshlrev_b32 v0, 1, v0
	s_lshl_b64 s[6:7], s[4:5], 3
	s_delay_alu instid0(VALU_DEP_1) | instskip(NEXT) | instid1(VALU_DEP_1)
	v_lshl_or_b32 v2, s14, 9, v0
	v_lshlrev_b64 v[0:1], 1, v[2:3]
	s_waitcnt lgkmcnt(0)
	s_add_u32 s0, s8, s6
	s_addc_u32 s1, s9, s7
	s_lshl_b64 s[4:5], s[10:11], 1
	s_load_b64 s[0:1], s[0:1], 0x0
	s_mov_b32 s8, exec_lo
	s_waitcnt lgkmcnt(0)
	s_add_u32 s4, s0, s4
	s_addc_u32 s5, s1, s5
	s_add_u32 s0, s16, s6
	s_addc_u32 s1, s17, s7
	s_lshl_b64 s[6:7], s[18:19], 1
	s_load_b64 s[0:1], s[0:1], 0x0
	s_waitcnt lgkmcnt(0)
	s_add_u32 s6, s0, s6
	s_addc_u32 s7, s1, s7
	s_add_i32 s0, s2, -1
	s_delay_alu instid0(SALU_CYCLE_1) | instskip(NEXT) | instid1(SALU_CYCLE_1)
	s_ashr_i32 s1, s0, 31
	v_cmpx_gt_i64_e64 s[0:1], v[2:3]
	s_cbranch_execz .LBB193_3
; %bb.2:
	v_add_co_u32 v4, vcc_lo, s6, v0
	v_add_co_ci_u32_e32 v5, vcc_lo, s7, v1, vcc_lo
	v_add_co_u32 v6, vcc_lo, s4, v0
	v_add_co_ci_u32_e32 v7, vcc_lo, s5, v1, vcc_lo
	global_load_b32 v8, v[4:5], off
	global_load_u16 v9, v[6:7], off
	s_waitcnt vmcnt(0)
	v_fma_mixlo_f16 v9, v9, s3, v8 op_sel_hi:[1,0,1]
	global_store_b16 v[4:5], v9, off
	global_load_u16 v6, v[6:7], off offset:2
	s_waitcnt vmcnt(0)
	v_fma_mixlo_f16 v6, v6, s3, v8 op_sel:[0,0,1] op_sel_hi:[1,0,1]
	global_store_b16 v[4:5], v6, off offset:2
.LBB193_3:
	s_or_b32 exec_lo, exec_lo, s8
	v_cmp_eq_u64_e32 vcc_lo, s[0:1], v[2:3]
	s_bitcmp1_b32 s2, 0
	s_cselect_b32 s0, -1, 0
	s_delay_alu instid0(SALU_CYCLE_1) | instskip(NEXT) | instid1(SALU_CYCLE_1)
	s_and_b32 s0, s0, vcc_lo
	s_and_saveexec_b32 s1, s0
	s_cbranch_execz .LBB193_5
; %bb.4:
	v_add_co_u32 v2, vcc_lo, s6, v0
	v_add_co_ci_u32_e32 v3, vcc_lo, s7, v1, vcc_lo
	v_add_co_u32 v0, vcc_lo, s4, v0
	v_add_co_ci_u32_e32 v1, vcc_lo, s5, v1, vcc_lo
	global_load_u16 v4, v[2:3], off
	global_load_u16 v0, v[0:1], off
	s_waitcnt vmcnt(0)
	v_fma_mixlo_f16 v0, v0, s3, v4 op_sel_hi:[1,0,1]
	global_store_b16 v[2:3], v0, off
.LBB193_5:
	s_nop 0
	s_sendmsg sendmsg(MSG_DEALLOC_VGPRS)
	s_endpgm
	.section	.rodata,"a",@progbits
	.p2align	6, 0x0
	.amdhsa_kernel _ZL22rocblas_saxpy_2_kernelILi256EffPKPKDF16_PKPDF16_EviT1_lT2_llT3_lli
		.amdhsa_group_segment_fixed_size 0
		.amdhsa_private_segment_fixed_size 0
		.amdhsa_kernarg_size 68
		.amdhsa_user_sgpr_count 14
		.amdhsa_user_sgpr_dispatch_ptr 0
		.amdhsa_user_sgpr_queue_ptr 0
		.amdhsa_user_sgpr_kernarg_segment_ptr 1
		.amdhsa_user_sgpr_dispatch_id 0
		.amdhsa_user_sgpr_private_segment_size 0
		.amdhsa_wavefront_size32 1
		.amdhsa_uses_dynamic_stack 0
		.amdhsa_enable_private_segment 0
		.amdhsa_system_sgpr_workgroup_id_x 1
		.amdhsa_system_sgpr_workgroup_id_y 0
		.amdhsa_system_sgpr_workgroup_id_z 1
		.amdhsa_system_sgpr_workgroup_info 0
		.amdhsa_system_vgpr_workitem_id 0
		.amdhsa_next_free_vgpr 10
		.amdhsa_next_free_sgpr 20
		.amdhsa_reserve_vcc 1
		.amdhsa_float_round_mode_32 0
		.amdhsa_float_round_mode_16_64 0
		.amdhsa_float_denorm_mode_32 3
		.amdhsa_float_denorm_mode_16_64 3
		.amdhsa_dx10_clamp 1
		.amdhsa_ieee_mode 1
		.amdhsa_fp16_overflow 0
		.amdhsa_workgroup_processor_mode 1
		.amdhsa_memory_ordered 1
		.amdhsa_forward_progress 0
		.amdhsa_shared_vgpr_count 0
		.amdhsa_exception_fp_ieee_invalid_op 0
		.amdhsa_exception_fp_denorm_src 0
		.amdhsa_exception_fp_ieee_div_zero 0
		.amdhsa_exception_fp_ieee_overflow 0
		.amdhsa_exception_fp_ieee_underflow 0
		.amdhsa_exception_fp_ieee_inexact 0
		.amdhsa_exception_int_div_zero 0
	.end_amdhsa_kernel
	.section	.text._ZL22rocblas_saxpy_2_kernelILi256EffPKPKDF16_PKPDF16_EviT1_lT2_llT3_lli,"axG",@progbits,_ZL22rocblas_saxpy_2_kernelILi256EffPKPKDF16_PKPDF16_EviT1_lT2_llT3_lli,comdat
.Lfunc_end193:
	.size	_ZL22rocblas_saxpy_2_kernelILi256EffPKPKDF16_PKPDF16_EviT1_lT2_llT3_lli, .Lfunc_end193-_ZL22rocblas_saxpy_2_kernelILi256EffPKPKDF16_PKPDF16_EviT1_lT2_llT3_lli
                                        ; -- End function
	.section	.AMDGPU.csdata,"",@progbits
; Kernel info:
; codeLenInByte = 380
; NumSgprs: 22
; NumVgprs: 10
; ScratchSize: 0
; MemoryBound: 0
; FloatMode: 240
; IeeeMode: 1
; LDSByteSize: 0 bytes/workgroup (compile time only)
; SGPRBlocks: 2
; VGPRBlocks: 1
; NumSGPRsForWavesPerEU: 22
; NumVGPRsForWavesPerEU: 10
; Occupancy: 16
; WaveLimiterHint : 1
; COMPUTE_PGM_RSRC2:SCRATCH_EN: 0
; COMPUTE_PGM_RSRC2:USER_SGPR: 14
; COMPUTE_PGM_RSRC2:TRAP_HANDLER: 0
; COMPUTE_PGM_RSRC2:TGID_X_EN: 1
; COMPUTE_PGM_RSRC2:TGID_Y_EN: 0
; COMPUTE_PGM_RSRC2:TGID_Z_EN: 1
; COMPUTE_PGM_RSRC2:TIDIG_COMP_CNT: 0
	.section	.text._ZL27rocblas_axpy_kernel_batchedIiLi128ELi8EfPKfPKPKDF16_PKPDF16_EviT3_lT4_lT_lT5_lSB_li,"axG",@progbits,_ZL27rocblas_axpy_kernel_batchedIiLi128ELi8EfPKfPKPKDF16_PKPDF16_EviT3_lT4_lT_lT5_lSB_li,comdat
	.globl	_ZL27rocblas_axpy_kernel_batchedIiLi128ELi8EfPKfPKPKDF16_PKPDF16_EviT3_lT4_lT_lT5_lSB_li ; -- Begin function _ZL27rocblas_axpy_kernel_batchedIiLi128ELi8EfPKfPKPKDF16_PKPDF16_EviT3_lT4_lT_lT5_lSB_li
	.p2align	8
	.type	_ZL27rocblas_axpy_kernel_batchedIiLi128ELi8EfPKfPKPKDF16_PKPDF16_EviT3_lT4_lT_lT5_lSB_li,@function
_ZL27rocblas_axpy_kernel_batchedIiLi128ELi8EfPKfPKPKDF16_PKPDF16_EviT3_lT4_lT_lT5_lSB_li: ; @_ZL27rocblas_axpy_kernel_batchedIiLi128ELi8EfPKfPKPKDF16_PKPDF16_EviT3_lT4_lT_lT5_lSB_li
; %bb.0:
	s_load_b32 s2, s[0:1], 0x0
	v_dual_mov_b32 v6, 0 :: v_dual_and_b32 v1, 0x3ff, v0
	s_delay_alu instid0(VALU_DEP_1)
	v_lshl_add_u32 v5, s14, 7, v1
	s_waitcnt lgkmcnt(0)
	s_ashr_i32 s3, s2, 31
	s_delay_alu instid0(VALU_DEP_1) | instid1(SALU_CYCLE_1)
	v_cmp_gt_i64_e32 vcc_lo, s[2:3], v[5:6]
	s_and_saveexec_b32 s2, vcc_lo
	s_cbranch_execz .LBB194_13
; %bb.1:
	s_clause 0x3
	s_load_b32 s13, s[0:1], 0x28
	s_load_b32 s14, s[0:1], 0x48
	s_load_b128 s[8:11], s[0:1], 0x38
	s_load_b32 s12, s[0:1], 0x58
	v_bfe_u32 v0, v0, 10, 10
	s_load_b256 s[0:7], s[0:1], 0x8
	s_waitcnt lgkmcnt(0)
	v_mad_u64_u32 v[1:2], null, s13, v5, 0
	v_mad_u64_u32 v[3:4], null, s14, v5, 0
	v_lshlrev_b32_e32 v9, 2, v0
	s_ashr_i32 s13, s13, 31
	s_ashr_i32 s14, s14, 31
	s_delay_alu instid0(VALU_DEP_3) | instskip(NEXT) | instid1(VALU_DEP_3)
	v_mov_b32_e32 v0, v2
	v_mov_b32_e32 v2, v4
	s_delay_alu instid0(VALU_DEP_2) | instskip(NEXT) | instid1(VALU_DEP_2)
	v_mad_u64_u32 v[6:7], null, s13, v5, v[0:1]
	v_mad_u64_u32 v[7:8], null, s14, v5, v[2:3]
	v_lshl_add_u32 v5, s15, 5, v9
	s_mov_b32 s13, exec_lo
	s_delay_alu instid0(VALU_DEP_3) | instskip(NEXT) | instid1(VALU_DEP_3)
	v_mov_b32_e32 v2, v6
	v_mov_b32_e32 v4, v7
	s_delay_alu instid0(VALU_DEP_3)
	v_cmpx_gt_u32_e64 s12, v5
	s_cbranch_execz .LBB194_4
; %bb.2:
	v_mad_u64_u32 v[6:7], null, v5, s2, 0
	s_delay_alu instid0(VALU_DEP_1) | instskip(NEXT) | instid1(VALU_DEP_1)
	v_mov_b32_e32 v0, v7
	v_mad_u64_u32 v[7:8], null, v5, s3, v[0:1]
	s_delay_alu instid0(VALU_DEP_1) | instskip(NEXT) | instid1(VALU_DEP_1)
	v_lshlrev_b64 v[6:7], 2, v[6:7]
	v_add_co_u32 v6, vcc_lo, s0, v6
	s_delay_alu instid0(VALU_DEP_2)
	v_add_co_ci_u32_e32 v7, vcc_lo, s1, v7, vcc_lo
	global_load_b32 v0, v[6:7], off
	s_waitcnt vmcnt(0)
	v_cmp_neq_f32_e32 vcc_lo, 0, v0
	s_and_b32 exec_lo, exec_lo, vcc_lo
	s_cbranch_execz .LBB194_4
; %bb.3:
	v_mov_b32_e32 v6, 0
	v_lshlrev_b64 v[10:11], 1, v[3:4]
	v_lshlrev_b64 v[12:13], 1, v[1:2]
	s_lshl_b64 s[16:17], s[10:11], 1
	s_lshl_b64 s[14:15], s[6:7], 1
	v_lshlrev_b64 v[6:7], 3, v[5:6]
	s_delay_alu instid0(VALU_DEP_1) | instskip(NEXT) | instid1(VALU_DEP_2)
	v_add_co_u32 v8, vcc_lo, s8, v6
	v_add_co_ci_u32_e32 v9, vcc_lo, s9, v7, vcc_lo
	v_add_co_u32 v6, vcc_lo, s4, v6
	v_add_co_ci_u32_e32 v7, vcc_lo, s5, v7, vcc_lo
	global_load_b64 v[8:9], v[8:9], off
	global_load_b64 v[6:7], v[6:7], off
	s_waitcnt vmcnt(1)
	v_add_co_u32 v8, vcc_lo, v8, v10
	v_add_co_ci_u32_e32 v9, vcc_lo, v9, v11, vcc_lo
	s_waitcnt vmcnt(0)
	v_add_co_u32 v10, vcc_lo, v6, v12
	v_add_co_ci_u32_e32 v11, vcc_lo, v7, v13, vcc_lo
	v_add_co_u32 v6, vcc_lo, v8, s16
	v_add_co_ci_u32_e32 v7, vcc_lo, s17, v9, vcc_lo
	s_delay_alu instid0(VALU_DEP_4) | instskip(NEXT) | instid1(VALU_DEP_4)
	v_add_co_u32 v8, vcc_lo, v10, s14
	v_add_co_ci_u32_e32 v9, vcc_lo, s15, v11, vcc_lo
	global_load_u16 v10, v[6:7], off
	global_load_u16 v8, v[8:9], off
	s_waitcnt vmcnt(0)
	v_fma_mixlo_f16 v0, v0, v8, v10 op_sel_hi:[0,1,1]
	global_store_b16 v[6:7], v0, off
.LBB194_4:
	s_or_b32 exec_lo, exec_lo, s13
	v_or_b32_e32 v0, 1, v5
	s_mov_b32 s13, exec_lo
	s_delay_alu instid0(VALU_DEP_1)
	v_cmpx_gt_u32_e64 s12, v0
	s_cbranch_execz .LBB194_7
; %bb.5:
	v_mad_u64_u32 v[6:7], null, v0, s2, 0
	s_delay_alu instid0(VALU_DEP_1) | instskip(NEXT) | instid1(VALU_DEP_1)
	v_mad_u64_u32 v[8:9], null, v0, s3, v[7:8]
	v_mov_b32_e32 v7, v8
	s_delay_alu instid0(VALU_DEP_1) | instskip(NEXT) | instid1(VALU_DEP_1)
	v_lshlrev_b64 v[6:7], 2, v[6:7]
	v_add_co_u32 v6, vcc_lo, s0, v6
	s_delay_alu instid0(VALU_DEP_2)
	v_add_co_ci_u32_e32 v7, vcc_lo, s1, v7, vcc_lo
	global_load_b32 v0, v[6:7], off
	s_waitcnt vmcnt(0)
	v_cmp_neq_f32_e32 vcc_lo, 0, v0
	s_and_b32 exec_lo, exec_lo, vcc_lo
	s_cbranch_execz .LBB194_7
; %bb.6:
	v_mov_b32_e32 v6, 0
	v_lshlrev_b64 v[10:11], 1, v[3:4]
	v_lshlrev_b64 v[12:13], 1, v[1:2]
	s_lshl_b64 s[16:17], s[10:11], 1
	s_lshl_b64 s[14:15], s[6:7], 1
	v_lshlrev_b64 v[6:7], 3, v[5:6]
	s_delay_alu instid0(VALU_DEP_1) | instskip(NEXT) | instid1(VALU_DEP_2)
	v_add_co_u32 v8, vcc_lo, s8, v6
	v_add_co_ci_u32_e32 v9, vcc_lo, s9, v7, vcc_lo
	v_add_co_u32 v6, vcc_lo, s4, v6
	v_add_co_ci_u32_e32 v7, vcc_lo, s5, v7, vcc_lo
	global_load_b64 v[8:9], v[8:9], off offset:8
	global_load_b64 v[6:7], v[6:7], off offset:8
	s_waitcnt vmcnt(1)
	v_add_co_u32 v8, vcc_lo, v8, v10
	v_add_co_ci_u32_e32 v9, vcc_lo, v9, v11, vcc_lo
	s_waitcnt vmcnt(0)
	v_add_co_u32 v10, vcc_lo, v6, v12
	v_add_co_ci_u32_e32 v11, vcc_lo, v7, v13, vcc_lo
	v_add_co_u32 v6, vcc_lo, v8, s16
	v_add_co_ci_u32_e32 v7, vcc_lo, s17, v9, vcc_lo
	s_delay_alu instid0(VALU_DEP_4) | instskip(NEXT) | instid1(VALU_DEP_4)
	v_add_co_u32 v8, vcc_lo, v10, s14
	v_add_co_ci_u32_e32 v9, vcc_lo, s15, v11, vcc_lo
	global_load_u16 v10, v[6:7], off
	global_load_u16 v8, v[8:9], off
	s_waitcnt vmcnt(0)
	v_fma_mixlo_f16 v0, v0, v8, v10 op_sel_hi:[0,1,1]
	global_store_b16 v[6:7], v0, off
.LBB194_7:
	s_or_b32 exec_lo, exec_lo, s13
	v_or_b32_e32 v0, 2, v5
	s_mov_b32 s13, exec_lo
	s_delay_alu instid0(VALU_DEP_1)
	v_cmpx_gt_u32_e64 s12, v0
	s_cbranch_execz .LBB194_10
; %bb.8:
	v_mad_u64_u32 v[6:7], null, v0, s2, 0
	s_delay_alu instid0(VALU_DEP_1) | instskip(NEXT) | instid1(VALU_DEP_1)
	v_mad_u64_u32 v[8:9], null, v0, s3, v[7:8]
	v_mov_b32_e32 v7, v8
	s_delay_alu instid0(VALU_DEP_1) | instskip(NEXT) | instid1(VALU_DEP_1)
	v_lshlrev_b64 v[6:7], 2, v[6:7]
	v_add_co_u32 v6, vcc_lo, s0, v6
	s_delay_alu instid0(VALU_DEP_2)
	v_add_co_ci_u32_e32 v7, vcc_lo, s1, v7, vcc_lo
	global_load_b32 v0, v[6:7], off
	s_waitcnt vmcnt(0)
	v_cmp_neq_f32_e32 vcc_lo, 0, v0
	s_and_b32 exec_lo, exec_lo, vcc_lo
	s_cbranch_execz .LBB194_10
; %bb.9:
	v_mov_b32_e32 v6, 0
	v_lshlrev_b64 v[10:11], 1, v[3:4]
	v_lshlrev_b64 v[12:13], 1, v[1:2]
	s_lshl_b64 s[16:17], s[10:11], 1
	s_lshl_b64 s[14:15], s[6:7], 1
	v_lshlrev_b64 v[6:7], 3, v[5:6]
	s_delay_alu instid0(VALU_DEP_1) | instskip(NEXT) | instid1(VALU_DEP_2)
	v_add_co_u32 v8, vcc_lo, s8, v6
	v_add_co_ci_u32_e32 v9, vcc_lo, s9, v7, vcc_lo
	v_add_co_u32 v6, vcc_lo, s4, v6
	v_add_co_ci_u32_e32 v7, vcc_lo, s5, v7, vcc_lo
	global_load_b64 v[8:9], v[8:9], off offset:16
	global_load_b64 v[6:7], v[6:7], off offset:16
	s_waitcnt vmcnt(1)
	v_add_co_u32 v8, vcc_lo, v8, v10
	v_add_co_ci_u32_e32 v9, vcc_lo, v9, v11, vcc_lo
	s_waitcnt vmcnt(0)
	v_add_co_u32 v10, vcc_lo, v6, v12
	v_add_co_ci_u32_e32 v11, vcc_lo, v7, v13, vcc_lo
	v_add_co_u32 v6, vcc_lo, v8, s16
	v_add_co_ci_u32_e32 v7, vcc_lo, s17, v9, vcc_lo
	s_delay_alu instid0(VALU_DEP_4) | instskip(NEXT) | instid1(VALU_DEP_4)
	v_add_co_u32 v8, vcc_lo, v10, s14
	v_add_co_ci_u32_e32 v9, vcc_lo, s15, v11, vcc_lo
	global_load_u16 v10, v[6:7], off
	global_load_u16 v8, v[8:9], off
	s_waitcnt vmcnt(0)
	v_fma_mixlo_f16 v0, v0, v8, v10 op_sel_hi:[0,1,1]
	global_store_b16 v[6:7], v0, off
.LBB194_10:
	s_or_b32 exec_lo, exec_lo, s13
	v_or_b32_e32 v0, 3, v5
	s_delay_alu instid0(VALU_DEP_1)
	v_cmp_gt_u32_e32 vcc_lo, s12, v0
	s_and_b32 exec_lo, exec_lo, vcc_lo
	s_cbranch_execz .LBB194_13
; %bb.11:
	v_mad_u64_u32 v[6:7], null, v0, s2, 0
	s_delay_alu instid0(VALU_DEP_1) | instskip(NEXT) | instid1(VALU_DEP_1)
	v_mad_u64_u32 v[8:9], null, v0, s3, v[7:8]
	v_mov_b32_e32 v7, v8
	s_delay_alu instid0(VALU_DEP_1) | instskip(NEXT) | instid1(VALU_DEP_1)
	v_lshlrev_b64 v[6:7], 2, v[6:7]
	v_add_co_u32 v6, vcc_lo, s0, v6
	s_delay_alu instid0(VALU_DEP_2)
	v_add_co_ci_u32_e32 v7, vcc_lo, s1, v7, vcc_lo
	global_load_b32 v0, v[6:7], off
	s_waitcnt vmcnt(0)
	v_cmp_neq_f32_e32 vcc_lo, 0, v0
	s_and_b32 exec_lo, exec_lo, vcc_lo
	s_cbranch_execz .LBB194_13
; %bb.12:
	v_mov_b32_e32 v6, 0
	v_lshlrev_b64 v[3:4], 1, v[3:4]
	v_lshlrev_b64 v[1:2], 1, v[1:2]
	s_lshl_b64 s[2:3], s[10:11], 1
	s_lshl_b64 s[0:1], s[6:7], 1
	v_lshlrev_b64 v[5:6], 3, v[5:6]
	s_delay_alu instid0(VALU_DEP_1) | instskip(NEXT) | instid1(VALU_DEP_2)
	v_add_co_u32 v7, vcc_lo, s8, v5
	v_add_co_ci_u32_e32 v8, vcc_lo, s9, v6, vcc_lo
	v_add_co_u32 v5, vcc_lo, s4, v5
	v_add_co_ci_u32_e32 v6, vcc_lo, s5, v6, vcc_lo
	global_load_b64 v[7:8], v[7:8], off offset:24
	global_load_b64 v[5:6], v[5:6], off offset:24
	s_waitcnt vmcnt(1)
	v_add_co_u32 v3, vcc_lo, v7, v3
	v_add_co_ci_u32_e32 v4, vcc_lo, v8, v4, vcc_lo
	s_waitcnt vmcnt(0)
	v_add_co_u32 v5, vcc_lo, v5, v1
	v_add_co_ci_u32_e32 v6, vcc_lo, v6, v2, vcc_lo
	v_add_co_u32 v1, vcc_lo, v3, s2
	v_add_co_ci_u32_e32 v2, vcc_lo, s3, v4, vcc_lo
	s_delay_alu instid0(VALU_DEP_4) | instskip(NEXT) | instid1(VALU_DEP_4)
	v_add_co_u32 v3, vcc_lo, v5, s0
	v_add_co_ci_u32_e32 v4, vcc_lo, s1, v6, vcc_lo
	global_load_u16 v5, v[1:2], off
	global_load_u16 v3, v[3:4], off
	s_waitcnt vmcnt(0)
	v_fma_mixlo_f16 v0, v0, v3, v5 op_sel_hi:[0,1,1]
	global_store_b16 v[1:2], v0, off
.LBB194_13:
	s_nop 0
	s_sendmsg sendmsg(MSG_DEALLOC_VGPRS)
	s_endpgm
	.section	.rodata,"a",@progbits
	.p2align	6, 0x0
	.amdhsa_kernel _ZL27rocblas_axpy_kernel_batchedIiLi128ELi8EfPKfPKPKDF16_PKPDF16_EviT3_lT4_lT_lT5_lSB_li
		.amdhsa_group_segment_fixed_size 0
		.amdhsa_private_segment_fixed_size 0
		.amdhsa_kernarg_size 92
		.amdhsa_user_sgpr_count 14
		.amdhsa_user_sgpr_dispatch_ptr 0
		.amdhsa_user_sgpr_queue_ptr 0
		.amdhsa_user_sgpr_kernarg_segment_ptr 1
		.amdhsa_user_sgpr_dispatch_id 0
		.amdhsa_user_sgpr_private_segment_size 0
		.amdhsa_wavefront_size32 1
		.amdhsa_uses_dynamic_stack 0
		.amdhsa_enable_private_segment 0
		.amdhsa_system_sgpr_workgroup_id_x 1
		.amdhsa_system_sgpr_workgroup_id_y 0
		.amdhsa_system_sgpr_workgroup_id_z 1
		.amdhsa_system_sgpr_workgroup_info 0
		.amdhsa_system_vgpr_workitem_id 1
		.amdhsa_next_free_vgpr 14
		.amdhsa_next_free_sgpr 18
		.amdhsa_reserve_vcc 1
		.amdhsa_float_round_mode_32 0
		.amdhsa_float_round_mode_16_64 0
		.amdhsa_float_denorm_mode_32 3
		.amdhsa_float_denorm_mode_16_64 3
		.amdhsa_dx10_clamp 1
		.amdhsa_ieee_mode 1
		.amdhsa_fp16_overflow 0
		.amdhsa_workgroup_processor_mode 1
		.amdhsa_memory_ordered 1
		.amdhsa_forward_progress 0
		.amdhsa_shared_vgpr_count 0
		.amdhsa_exception_fp_ieee_invalid_op 0
		.amdhsa_exception_fp_denorm_src 0
		.amdhsa_exception_fp_ieee_div_zero 0
		.amdhsa_exception_fp_ieee_overflow 0
		.amdhsa_exception_fp_ieee_underflow 0
		.amdhsa_exception_fp_ieee_inexact 0
		.amdhsa_exception_int_div_zero 0
	.end_amdhsa_kernel
	.section	.text._ZL27rocblas_axpy_kernel_batchedIiLi128ELi8EfPKfPKPKDF16_PKPDF16_EviT3_lT4_lT_lT5_lSB_li,"axG",@progbits,_ZL27rocblas_axpy_kernel_batchedIiLi128ELi8EfPKfPKPKDF16_PKPDF16_EviT3_lT4_lT_lT5_lSB_li,comdat
.Lfunc_end194:
	.size	_ZL27rocblas_axpy_kernel_batchedIiLi128ELi8EfPKfPKPKDF16_PKPDF16_EviT3_lT4_lT_lT5_lSB_li, .Lfunc_end194-_ZL27rocblas_axpy_kernel_batchedIiLi128ELi8EfPKfPKPKDF16_PKPDF16_EviT3_lT4_lT_lT5_lSB_li
                                        ; -- End function
	.section	.AMDGPU.csdata,"",@progbits
; Kernel info:
; codeLenInByte = 1312
; NumSgprs: 20
; NumVgprs: 14
; ScratchSize: 0
; MemoryBound: 0
; FloatMode: 240
; IeeeMode: 1
; LDSByteSize: 0 bytes/workgroup (compile time only)
; SGPRBlocks: 2
; VGPRBlocks: 1
; NumSGPRsForWavesPerEU: 20
; NumVGPRsForWavesPerEU: 14
; Occupancy: 16
; WaveLimiterHint : 1
; COMPUTE_PGM_RSRC2:SCRATCH_EN: 0
; COMPUTE_PGM_RSRC2:USER_SGPR: 14
; COMPUTE_PGM_RSRC2:TRAP_HANDLER: 0
; COMPUTE_PGM_RSRC2:TGID_X_EN: 1
; COMPUTE_PGM_RSRC2:TGID_Y_EN: 0
; COMPUTE_PGM_RSRC2:TGID_Z_EN: 1
; COMPUTE_PGM_RSRC2:TIDIG_COMP_CNT: 1
	.section	.text._ZL27rocblas_axpy_kernel_batchedIiLi128ELi8EffPKPKDF16_PKPDF16_EviT3_lT4_lT_lT5_lS9_li,"axG",@progbits,_ZL27rocblas_axpy_kernel_batchedIiLi128ELi8EffPKPKDF16_PKPDF16_EviT3_lT4_lT_lT5_lS9_li,comdat
	.globl	_ZL27rocblas_axpy_kernel_batchedIiLi128ELi8EffPKPKDF16_PKPDF16_EviT3_lT4_lT_lT5_lS9_li ; -- Begin function _ZL27rocblas_axpy_kernel_batchedIiLi128ELi8EffPKPKDF16_PKPDF16_EviT3_lT4_lT_lT5_lS9_li
	.p2align	8
	.type	_ZL27rocblas_axpy_kernel_batchedIiLi128ELi8EffPKPKDF16_PKPDF16_EviT3_lT4_lT_lT5_lS9_li,@function
_ZL27rocblas_axpy_kernel_batchedIiLi128ELi8EffPKPKDF16_PKPDF16_EviT3_lT4_lT_lT5_lS9_li: ; @_ZL27rocblas_axpy_kernel_batchedIiLi128ELi8EffPKPKDF16_PKPDF16_EviT3_lT4_lT_lT5_lS9_li
; %bb.0:
	s_load_b64 s[8:9], s[0:1], 0x0
	v_dual_mov_b32 v2, 0 :: v_dual_and_b32 v1, 0x3ff, v0
	s_delay_alu instid0(VALU_DEP_1)
	v_lshl_add_u32 v1, s14, 7, v1
	s_waitcnt lgkmcnt(0)
	s_ashr_i32 s3, s8, 31
	s_mov_b32 s2, s8
	s_delay_alu instid0(VALU_DEP_1) | instid1(SALU_CYCLE_1)
	v_cmp_gt_i64_e32 vcc_lo, s[2:3], v[1:2]
	s_and_saveexec_b32 s2, vcc_lo
	s_cbranch_execz .LBB195_9
; %bb.1:
	s_clause 0x2
	s_load_b32 s10, s[0:1], 0x20
	s_load_b32 s11, s[0:1], 0x40
	;; [unrolled: 1-line block ×3, first 2 shown]
	v_bfe_u32 v4, v0, 10, 10
	s_clause 0x1
	s_load_b128 s[4:7], s[0:1], 0x10
	s_load_b128 s[0:3], s[0:1], 0x30
	s_waitcnt lgkmcnt(0)
	v_mad_u64_u32 v[2:3], null, s10, v1, 0
	v_mad_u64_u32 v[5:6], null, s11, v1, 0
	s_ashr_i32 s10, s10, 31
	s_ashr_i32 s11, s11, 31
	s_delay_alu instid0(VALU_DEP_1) | instskip(NEXT) | instid1(VALU_DEP_1)
	v_dual_mov_b32 v0, v3 :: v_dual_mov_b32 v3, v6
	v_mad_u64_u32 v[6:7], null, s10, v1, v[0:1]
	s_delay_alu instid0(VALU_DEP_2) | instskip(SKIP_2) | instid1(VALU_DEP_4)
	v_mad_u64_u32 v[7:8], null, s11, v1, v[3:4]
	v_lshlrev_b32_e32 v0, 2, v4
	v_cmp_neq_f32_e64 s10, s9, 0
	v_mov_b32_e32 v3, v6
	s_delay_alu instid0(VALU_DEP_3) | instskip(SKIP_1) | instid1(VALU_DEP_3)
	v_lshl_add_u32 v4, s15, 5, v0
	v_mov_b32_e32 v6, v7
	v_lshlrev_b64 v[0:1], 1, v[2:3]
	s_delay_alu instid0(VALU_DEP_3) | instskip(NEXT) | instid1(VALU_DEP_3)
	v_cmp_gt_u32_e32 vcc_lo, s8, v4
	v_lshlrev_b64 v[2:3], 1, v[5:6]
	s_and_b32 s12, s10, vcc_lo
	s_delay_alu instid0(SALU_CYCLE_1)
	s_and_saveexec_b32 s11, s12
	s_cbranch_execz .LBB195_3
; %bb.2:
	v_mov_b32_e32 v5, 0
	s_lshl_b64 s[14:15], s[2:3], 1
	s_lshl_b64 s[12:13], s[6:7], 1
	s_delay_alu instid0(VALU_DEP_1) | instskip(NEXT) | instid1(VALU_DEP_1)
	v_lshlrev_b64 v[5:6], 3, v[4:5]
	v_add_co_u32 v7, vcc_lo, s0, v5
	s_delay_alu instid0(VALU_DEP_2)
	v_add_co_ci_u32_e32 v8, vcc_lo, s1, v6, vcc_lo
	v_add_co_u32 v5, vcc_lo, s4, v5
	v_add_co_ci_u32_e32 v6, vcc_lo, s5, v6, vcc_lo
	global_load_b64 v[7:8], v[7:8], off
	global_load_b64 v[5:6], v[5:6], off
	s_waitcnt vmcnt(1)
	v_add_co_u32 v7, vcc_lo, v7, v2
	v_add_co_ci_u32_e32 v8, vcc_lo, v8, v3, vcc_lo
	s_waitcnt vmcnt(0)
	v_add_co_u32 v9, vcc_lo, v5, v0
	v_add_co_ci_u32_e32 v10, vcc_lo, v6, v1, vcc_lo
	v_add_co_u32 v5, vcc_lo, v7, s14
	v_add_co_ci_u32_e32 v6, vcc_lo, s15, v8, vcc_lo
	s_delay_alu instid0(VALU_DEP_4) | instskip(NEXT) | instid1(VALU_DEP_4)
	v_add_co_u32 v7, vcc_lo, v9, s12
	v_add_co_ci_u32_e32 v8, vcc_lo, s13, v10, vcc_lo
	global_load_u16 v9, v[5:6], off
	global_load_u16 v7, v[7:8], off
	s_waitcnt vmcnt(0)
	v_fma_mixlo_f16 v7, v7, s9, v9 op_sel_hi:[1,0,1]
	global_store_b16 v[5:6], v7, off
.LBB195_3:
	s_or_b32 exec_lo, exec_lo, s11
	v_or_b32_e32 v5, 1, v4
	s_delay_alu instid0(VALU_DEP_1) | instskip(SKIP_1) | instid1(SALU_CYCLE_1)
	v_cmp_gt_u32_e32 vcc_lo, s8, v5
	s_and_b32 s12, s10, vcc_lo
	s_and_saveexec_b32 s11, s12
	s_cbranch_execz .LBB195_5
; %bb.4:
	v_mov_b32_e32 v5, 0
	s_lshl_b64 s[14:15], s[2:3], 1
	s_lshl_b64 s[12:13], s[6:7], 1
	s_delay_alu instid0(VALU_DEP_1) | instskip(NEXT) | instid1(VALU_DEP_1)
	v_lshlrev_b64 v[5:6], 3, v[4:5]
	v_add_co_u32 v7, vcc_lo, s0, v5
	s_delay_alu instid0(VALU_DEP_2)
	v_add_co_ci_u32_e32 v8, vcc_lo, s1, v6, vcc_lo
	v_add_co_u32 v5, vcc_lo, s4, v5
	v_add_co_ci_u32_e32 v6, vcc_lo, s5, v6, vcc_lo
	global_load_b64 v[7:8], v[7:8], off offset:8
	global_load_b64 v[5:6], v[5:6], off offset:8
	s_waitcnt vmcnt(1)
	v_add_co_u32 v7, vcc_lo, v7, v2
	v_add_co_ci_u32_e32 v8, vcc_lo, v8, v3, vcc_lo
	s_waitcnt vmcnt(0)
	v_add_co_u32 v9, vcc_lo, v5, v0
	v_add_co_ci_u32_e32 v10, vcc_lo, v6, v1, vcc_lo
	v_add_co_u32 v5, vcc_lo, v7, s14
	v_add_co_ci_u32_e32 v6, vcc_lo, s15, v8, vcc_lo
	s_delay_alu instid0(VALU_DEP_4) | instskip(NEXT) | instid1(VALU_DEP_4)
	v_add_co_u32 v7, vcc_lo, v9, s12
	v_add_co_ci_u32_e32 v8, vcc_lo, s13, v10, vcc_lo
	global_load_u16 v9, v[5:6], off
	global_load_u16 v7, v[7:8], off
	s_waitcnt vmcnt(0)
	v_fma_mixlo_f16 v7, v7, s9, v9 op_sel_hi:[1,0,1]
	global_store_b16 v[5:6], v7, off
.LBB195_5:
	s_or_b32 exec_lo, exec_lo, s11
	v_or_b32_e32 v5, 2, v4
	s_delay_alu instid0(VALU_DEP_1) | instskip(SKIP_1) | instid1(SALU_CYCLE_1)
	v_cmp_gt_u32_e32 vcc_lo, s8, v5
	s_and_b32 s12, s10, vcc_lo
	s_and_saveexec_b32 s11, s12
	s_cbranch_execz .LBB195_7
; %bb.6:
	v_mov_b32_e32 v5, 0
	s_lshl_b64 s[14:15], s[2:3], 1
	s_lshl_b64 s[12:13], s[6:7], 1
	s_delay_alu instid0(VALU_DEP_1) | instskip(NEXT) | instid1(VALU_DEP_1)
	v_lshlrev_b64 v[5:6], 3, v[4:5]
	v_add_co_u32 v7, vcc_lo, s0, v5
	s_delay_alu instid0(VALU_DEP_2)
	v_add_co_ci_u32_e32 v8, vcc_lo, s1, v6, vcc_lo
	v_add_co_u32 v5, vcc_lo, s4, v5
	v_add_co_ci_u32_e32 v6, vcc_lo, s5, v6, vcc_lo
	global_load_b64 v[7:8], v[7:8], off offset:16
	global_load_b64 v[5:6], v[5:6], off offset:16
	s_waitcnt vmcnt(1)
	v_add_co_u32 v7, vcc_lo, v7, v2
	v_add_co_ci_u32_e32 v8, vcc_lo, v8, v3, vcc_lo
	s_waitcnt vmcnt(0)
	v_add_co_u32 v9, vcc_lo, v5, v0
	v_add_co_ci_u32_e32 v10, vcc_lo, v6, v1, vcc_lo
	v_add_co_u32 v5, vcc_lo, v7, s14
	v_add_co_ci_u32_e32 v6, vcc_lo, s15, v8, vcc_lo
	s_delay_alu instid0(VALU_DEP_4) | instskip(NEXT) | instid1(VALU_DEP_4)
	v_add_co_u32 v7, vcc_lo, v9, s12
	v_add_co_ci_u32_e32 v8, vcc_lo, s13, v10, vcc_lo
	global_load_u16 v9, v[5:6], off
	global_load_u16 v7, v[7:8], off
	s_waitcnt vmcnt(0)
	v_fma_mixlo_f16 v7, v7, s9, v9 op_sel_hi:[1,0,1]
	global_store_b16 v[5:6], v7, off
.LBB195_7:
	s_or_b32 exec_lo, exec_lo, s11
	v_or_b32_e32 v5, 3, v4
	s_delay_alu instid0(VALU_DEP_1) | instskip(SKIP_1) | instid1(SALU_CYCLE_1)
	v_cmp_gt_u32_e32 vcc_lo, s8, v5
	s_and_b32 s8, s10, vcc_lo
	s_and_b32 exec_lo, exec_lo, s8
	s_cbranch_execz .LBB195_9
; %bb.8:
	v_mov_b32_e32 v5, 0
	s_lshl_b64 s[2:3], s[2:3], 1
	s_delay_alu instid0(VALU_DEP_1) | instskip(NEXT) | instid1(VALU_DEP_1)
	v_lshlrev_b64 v[4:5], 3, v[4:5]
	v_add_co_u32 v6, vcc_lo, s0, v4
	s_delay_alu instid0(VALU_DEP_2)
	v_add_co_ci_u32_e32 v7, vcc_lo, s1, v5, vcc_lo
	v_add_co_u32 v4, vcc_lo, s4, v4
	v_add_co_ci_u32_e32 v5, vcc_lo, s5, v5, vcc_lo
	s_lshl_b64 s[0:1], s[6:7], 1
	global_load_b64 v[6:7], v[6:7], off offset:24
	global_load_b64 v[4:5], v[4:5], off offset:24
	s_waitcnt vmcnt(1)
	v_add_co_u32 v2, vcc_lo, v6, v2
	v_add_co_ci_u32_e32 v3, vcc_lo, v7, v3, vcc_lo
	s_waitcnt vmcnt(0)
	v_add_co_u32 v4, vcc_lo, v4, v0
	v_add_co_ci_u32_e32 v5, vcc_lo, v5, v1, vcc_lo
	v_add_co_u32 v0, vcc_lo, v2, s2
	v_add_co_ci_u32_e32 v1, vcc_lo, s3, v3, vcc_lo
	s_delay_alu instid0(VALU_DEP_4) | instskip(NEXT) | instid1(VALU_DEP_4)
	v_add_co_u32 v2, vcc_lo, v4, s0
	v_add_co_ci_u32_e32 v3, vcc_lo, s1, v5, vcc_lo
	global_load_u16 v4, v[0:1], off
	global_load_u16 v2, v[2:3], off
	s_waitcnt vmcnt(0)
	v_fma_mixlo_f16 v2, v2, s9, v4 op_sel_hi:[1,0,1]
	global_store_b16 v[0:1], v2, off
.LBB195_9:
	s_nop 0
	s_sendmsg sendmsg(MSG_DEALLOC_VGPRS)
	s_endpgm
	.section	.rodata,"a",@progbits
	.p2align	6, 0x0
	.amdhsa_kernel _ZL27rocblas_axpy_kernel_batchedIiLi128ELi8EffPKPKDF16_PKPDF16_EviT3_lT4_lT_lT5_lS9_li
		.amdhsa_group_segment_fixed_size 0
		.amdhsa_private_segment_fixed_size 0
		.amdhsa_kernarg_size 84
		.amdhsa_user_sgpr_count 14
		.amdhsa_user_sgpr_dispatch_ptr 0
		.amdhsa_user_sgpr_queue_ptr 0
		.amdhsa_user_sgpr_kernarg_segment_ptr 1
		.amdhsa_user_sgpr_dispatch_id 0
		.amdhsa_user_sgpr_private_segment_size 0
		.amdhsa_wavefront_size32 1
		.amdhsa_uses_dynamic_stack 0
		.amdhsa_enable_private_segment 0
		.amdhsa_system_sgpr_workgroup_id_x 1
		.amdhsa_system_sgpr_workgroup_id_y 0
		.amdhsa_system_sgpr_workgroup_id_z 1
		.amdhsa_system_sgpr_workgroup_info 0
		.amdhsa_system_vgpr_workitem_id 1
		.amdhsa_next_free_vgpr 11
		.amdhsa_next_free_sgpr 16
		.amdhsa_reserve_vcc 1
		.amdhsa_float_round_mode_32 0
		.amdhsa_float_round_mode_16_64 0
		.amdhsa_float_denorm_mode_32 3
		.amdhsa_float_denorm_mode_16_64 3
		.amdhsa_dx10_clamp 1
		.amdhsa_ieee_mode 1
		.amdhsa_fp16_overflow 0
		.amdhsa_workgroup_processor_mode 1
		.amdhsa_memory_ordered 1
		.amdhsa_forward_progress 0
		.amdhsa_shared_vgpr_count 0
		.amdhsa_exception_fp_ieee_invalid_op 0
		.amdhsa_exception_fp_denorm_src 0
		.amdhsa_exception_fp_ieee_div_zero 0
		.amdhsa_exception_fp_ieee_overflow 0
		.amdhsa_exception_fp_ieee_underflow 0
		.amdhsa_exception_fp_ieee_inexact 0
		.amdhsa_exception_int_div_zero 0
	.end_amdhsa_kernel
	.section	.text._ZL27rocblas_axpy_kernel_batchedIiLi128ELi8EffPKPKDF16_PKPDF16_EviT3_lT4_lT_lT5_lS9_li,"axG",@progbits,_ZL27rocblas_axpy_kernel_batchedIiLi128ELi8EffPKPKDF16_PKPDF16_EviT3_lT4_lT_lT5_lS9_li,comdat
.Lfunc_end195:
	.size	_ZL27rocblas_axpy_kernel_batchedIiLi128ELi8EffPKPKDF16_PKPDF16_EviT3_lT4_lT_lT5_lS9_li, .Lfunc_end195-_ZL27rocblas_axpy_kernel_batchedIiLi128ELi8EffPKPKDF16_PKPDF16_EviT3_lT4_lT_lT5_lS9_li
                                        ; -- End function
	.section	.AMDGPU.csdata,"",@progbits
; Kernel info:
; codeLenInByte = 1000
; NumSgprs: 18
; NumVgprs: 11
; ScratchSize: 0
; MemoryBound: 0
; FloatMode: 240
; IeeeMode: 1
; LDSByteSize: 0 bytes/workgroup (compile time only)
; SGPRBlocks: 2
; VGPRBlocks: 1
; NumSGPRsForWavesPerEU: 18
; NumVGPRsForWavesPerEU: 11
; Occupancy: 16
; WaveLimiterHint : 1
; COMPUTE_PGM_RSRC2:SCRATCH_EN: 0
; COMPUTE_PGM_RSRC2:USER_SGPR: 14
; COMPUTE_PGM_RSRC2:TRAP_HANDLER: 0
; COMPUTE_PGM_RSRC2:TGID_X_EN: 1
; COMPUTE_PGM_RSRC2:TGID_Y_EN: 0
; COMPUTE_PGM_RSRC2:TGID_Z_EN: 1
; COMPUTE_PGM_RSRC2:TIDIG_COMP_CNT: 1
	.section	.text._ZL19rocblas_axpy_kernelIiLi256EfPKfPKPKDF16_PKPDF16_EviT2_lT3_lT_lT4_lSB_li,"axG",@progbits,_ZL19rocblas_axpy_kernelIiLi256EfPKfPKPKDF16_PKPDF16_EviT2_lT3_lT_lT4_lSB_li,comdat
	.globl	_ZL19rocblas_axpy_kernelIiLi256EfPKfPKPKDF16_PKPDF16_EviT2_lT3_lT_lT4_lSB_li ; -- Begin function _ZL19rocblas_axpy_kernelIiLi256EfPKfPKPKDF16_PKPDF16_EviT2_lT3_lT_lT4_lSB_li
	.p2align	8
	.type	_ZL19rocblas_axpy_kernelIiLi256EfPKfPKPKDF16_PKPDF16_EviT2_lT3_lT_lT4_lSB_li,@function
_ZL19rocblas_axpy_kernelIiLi256EfPKfPKPKDF16_PKPDF16_EviT2_lT3_lT_lT4_lSB_li: ; @_ZL19rocblas_axpy_kernelIiLi256EfPKfPKPKDF16_PKPDF16_EviT2_lT3_lT_lT4_lSB_li
; %bb.0:
	s_clause 0x1
	s_load_b128 s[4:7], s[0:1], 0x8
	s_load_b32 s8, s[0:1], 0x0
	v_lshl_or_b32 v0, s14, 8, v0
	v_mov_b32_e32 v1, 0
	s_waitcnt lgkmcnt(0)
	s_mul_i32 s3, s15, s7
	s_mul_hi_u32 s7, s15, s6
	s_mul_i32 s6, s15, s6
	s_add_i32 s7, s7, s3
	s_ashr_i32 s9, s8, 31
	s_lshl_b64 s[6:7], s[6:7], 2
	v_cmp_gt_i64_e32 vcc_lo, s[8:9], v[0:1]
	s_add_u32 s4, s4, s6
	s_addc_u32 s5, s5, s7
	s_mov_b32 s3, 0
	s_load_b32 s4, s[4:5], 0x0
	s_waitcnt lgkmcnt(0)
	v_cmp_neq_f32_e64 s5, s4, 0
	s_delay_alu instid0(VALU_DEP_1) | instskip(NEXT) | instid1(SALU_CYCLE_1)
	s_and_b32 s5, vcc_lo, s5
	s_and_saveexec_b32 s6, s5
	s_cbranch_execz .LBB196_2
; %bb.1:
	s_clause 0x2
	s_load_b32 s5, s[0:1], 0x28
	s_load_b32 s12, s[0:1], 0x48
	s_load_b128 s[8:11], s[0:1], 0x18
	s_mov_b32 s2, s15
	s_delay_alu instid0(SALU_CYCLE_1)
	s_lshl_b64 s[6:7], s[2:3], 3
	s_waitcnt lgkmcnt(0)
	s_ashr_i32 s13, s5, 31
	s_ashr_i32 s14, s12, 31
	s_add_u32 s2, s8, s6
	s_addc_u32 s3, s9, s7
	v_mad_u64_u32 v[1:2], null, s12, v0, 0
	s_load_b64 s[8:9], s[2:3], 0x0
	s_load_b128 s[0:3], s[0:1], 0x38
	v_mad_u64_u32 v[3:4], null, s5, v0, 0
	s_lshl_b64 s[10:11], s[10:11], 1
	s_delay_alu instid0(VALU_DEP_1) | instskip(NEXT) | instid1(VALU_DEP_1)
	v_mad_u64_u32 v[5:6], null, s14, v0, v[2:3]
	v_mad_u64_u32 v[6:7], null, s13, v0, v[4:5]
	s_waitcnt lgkmcnt(0)
	s_add_u32 s5, s10, s8
	s_addc_u32 s8, s11, s9
	s_add_u32 s0, s0, s6
	s_addc_u32 s1, s1, s7
	v_mov_b32_e32 v2, v5
	s_load_b64 s[0:1], s[0:1], 0x0
	v_mov_b32_e32 v4, v6
	s_lshl_b64 s[2:3], s[2:3], 1
	s_delay_alu instid0(VALU_DEP_2) | instskip(NEXT) | instid1(VALU_DEP_2)
	v_lshlrev_b64 v[0:1], 1, v[1:2]
	v_lshlrev_b64 v[2:3], 1, v[3:4]
	s_waitcnt lgkmcnt(0)
	s_add_u32 s0, s2, s0
	s_addc_u32 s1, s3, s1
	s_delay_alu instid0(VALU_DEP_2)
	v_add_co_u32 v0, vcc_lo, s0, v0
	v_add_co_ci_u32_e32 v1, vcc_lo, s1, v1, vcc_lo
	v_add_co_u32 v2, vcc_lo, s5, v2
	v_add_co_ci_u32_e32 v3, vcc_lo, s8, v3, vcc_lo
	global_load_u16 v4, v[0:1], off
	global_load_u16 v2, v[2:3], off
	s_waitcnt vmcnt(0)
	v_fma_mixlo_f16 v2, s4, v2, v4 op_sel_hi:[0,1,1]
	global_store_b16 v[0:1], v2, off
.LBB196_2:
	s_nop 0
	s_sendmsg sendmsg(MSG_DEALLOC_VGPRS)
	s_endpgm
	.section	.rodata,"a",@progbits
	.p2align	6, 0x0
	.amdhsa_kernel _ZL19rocblas_axpy_kernelIiLi256EfPKfPKPKDF16_PKPDF16_EviT2_lT3_lT_lT4_lSB_li
		.amdhsa_group_segment_fixed_size 0
		.amdhsa_private_segment_fixed_size 0
		.amdhsa_kernarg_size 92
		.amdhsa_user_sgpr_count 14
		.amdhsa_user_sgpr_dispatch_ptr 0
		.amdhsa_user_sgpr_queue_ptr 0
		.amdhsa_user_sgpr_kernarg_segment_ptr 1
		.amdhsa_user_sgpr_dispatch_id 0
		.amdhsa_user_sgpr_private_segment_size 0
		.amdhsa_wavefront_size32 1
		.amdhsa_uses_dynamic_stack 0
		.amdhsa_enable_private_segment 0
		.amdhsa_system_sgpr_workgroup_id_x 1
		.amdhsa_system_sgpr_workgroup_id_y 0
		.amdhsa_system_sgpr_workgroup_id_z 1
		.amdhsa_system_sgpr_workgroup_info 0
		.amdhsa_system_vgpr_workitem_id 0
		.amdhsa_next_free_vgpr 8
		.amdhsa_next_free_sgpr 16
		.amdhsa_reserve_vcc 1
		.amdhsa_float_round_mode_32 0
		.amdhsa_float_round_mode_16_64 0
		.amdhsa_float_denorm_mode_32 3
		.amdhsa_float_denorm_mode_16_64 3
		.amdhsa_dx10_clamp 1
		.amdhsa_ieee_mode 1
		.amdhsa_fp16_overflow 0
		.amdhsa_workgroup_processor_mode 1
		.amdhsa_memory_ordered 1
		.amdhsa_forward_progress 0
		.amdhsa_shared_vgpr_count 0
		.amdhsa_exception_fp_ieee_invalid_op 0
		.amdhsa_exception_fp_denorm_src 0
		.amdhsa_exception_fp_ieee_div_zero 0
		.amdhsa_exception_fp_ieee_overflow 0
		.amdhsa_exception_fp_ieee_underflow 0
		.amdhsa_exception_fp_ieee_inexact 0
		.amdhsa_exception_int_div_zero 0
	.end_amdhsa_kernel
	.section	.text._ZL19rocblas_axpy_kernelIiLi256EfPKfPKPKDF16_PKPDF16_EviT2_lT3_lT_lT4_lSB_li,"axG",@progbits,_ZL19rocblas_axpy_kernelIiLi256EfPKfPKPKDF16_PKPDF16_EviT2_lT3_lT_lT4_lSB_li,comdat
.Lfunc_end196:
	.size	_ZL19rocblas_axpy_kernelIiLi256EfPKfPKPKDF16_PKPDF16_EviT2_lT3_lT_lT4_lSB_li, .Lfunc_end196-_ZL19rocblas_axpy_kernelIiLi256EfPKfPKPKDF16_PKPDF16_EviT2_lT3_lT_lT4_lSB_li
                                        ; -- End function
	.section	.AMDGPU.csdata,"",@progbits
; Kernel info:
; codeLenInByte = 376
; NumSgprs: 18
; NumVgprs: 8
; ScratchSize: 0
; MemoryBound: 0
; FloatMode: 240
; IeeeMode: 1
; LDSByteSize: 0 bytes/workgroup (compile time only)
; SGPRBlocks: 2
; VGPRBlocks: 0
; NumSGPRsForWavesPerEU: 18
; NumVGPRsForWavesPerEU: 8
; Occupancy: 16
; WaveLimiterHint : 1
; COMPUTE_PGM_RSRC2:SCRATCH_EN: 0
; COMPUTE_PGM_RSRC2:USER_SGPR: 14
; COMPUTE_PGM_RSRC2:TRAP_HANDLER: 0
; COMPUTE_PGM_RSRC2:TGID_X_EN: 1
; COMPUTE_PGM_RSRC2:TGID_Y_EN: 0
; COMPUTE_PGM_RSRC2:TGID_Z_EN: 1
; COMPUTE_PGM_RSRC2:TIDIG_COMP_CNT: 0
	.section	.text._ZL19rocblas_axpy_kernelIiLi256EffPKPKDF16_PKPDF16_EviT2_lT3_lT_lT4_lS9_li,"axG",@progbits,_ZL19rocblas_axpy_kernelIiLi256EffPKPKDF16_PKPDF16_EviT2_lT3_lT_lT4_lS9_li,comdat
	.globl	_ZL19rocblas_axpy_kernelIiLi256EffPKPKDF16_PKPDF16_EviT2_lT3_lT_lT4_lS9_li ; -- Begin function _ZL19rocblas_axpy_kernelIiLi256EffPKPKDF16_PKPDF16_EviT2_lT3_lT_lT4_lS9_li
	.p2align	8
	.type	_ZL19rocblas_axpy_kernelIiLi256EffPKPKDF16_PKPDF16_EviT2_lT3_lT_lT4_lS9_li,@function
_ZL19rocblas_axpy_kernelIiLi256EffPKPKDF16_PKPDF16_EviT2_lT3_lT_lT4_lS9_li: ; @_ZL19rocblas_axpy_kernelIiLi256EffPKPKDF16_PKPDF16_EviT2_lT3_lT_lT4_lS9_li
; %bb.0:
	s_load_b64 s[2:3], s[0:1], 0x0
	v_mov_b32_e32 v1, 0
	v_lshl_or_b32 v0, s14, 8, v0
	s_mov_b32 s5, 0
	s_waitcnt lgkmcnt(0)
	s_ashr_i32 s7, s2, 31
	s_mov_b32 s6, s2
	v_cmp_neq_f32_e64 s2, s3, 0
	v_cmp_gt_i64_e32 vcc_lo, s[6:7], v[0:1]
	s_delay_alu instid0(VALU_DEP_2) | instskip(NEXT) | instid1(SALU_CYCLE_1)
	s_and_b32 s2, s2, vcc_lo
	s_and_saveexec_b32 s6, s2
	s_cbranch_execz .LBB197_2
; %bb.1:
	s_clause 0x2
	s_load_b32 s2, s[0:1], 0x20
	s_load_b32 s14, s[0:1], 0x40
	s_load_b128 s[8:11], s[0:1], 0x10
	s_mov_b32 s4, s15
	s_delay_alu instid0(SALU_CYCLE_1)
	s_lshl_b64 s[12:13], s[4:5], 3
	s_waitcnt lgkmcnt(0)
	s_ashr_i32 s15, s2, 31
	s_ashr_i32 s16, s14, 31
	s_add_u32 s4, s8, s12
	s_addc_u32 s5, s9, s13
	v_mad_u64_u32 v[1:2], null, s14, v0, 0
	s_load_b64 s[8:9], s[4:5], 0x0
	s_load_b128 s[4:7], s[0:1], 0x30
	v_mad_u64_u32 v[3:4], null, s2, v0, 0
	s_lshl_b64 s[0:1], s[10:11], 1
	s_delay_alu instid0(VALU_DEP_1) | instskip(NEXT) | instid1(VALU_DEP_1)
	v_mad_u64_u32 v[5:6], null, s16, v0, v[2:3]
	v_mad_u64_u32 v[6:7], null, s15, v0, v[4:5]
	s_waitcnt lgkmcnt(0)
	s_add_u32 s2, s0, s8
	s_addc_u32 s8, s1, s9
	s_add_u32 s0, s4, s12
	s_addc_u32 s1, s5, s13
	v_mov_b32_e32 v2, v5
	s_load_b64 s[0:1], s[0:1], 0x0
	v_mov_b32_e32 v4, v6
	s_lshl_b64 s[4:5], s[6:7], 1
	s_delay_alu instid0(VALU_DEP_2) | instskip(NEXT) | instid1(VALU_DEP_2)
	v_lshlrev_b64 v[0:1], 1, v[1:2]
	v_lshlrev_b64 v[2:3], 1, v[3:4]
	s_waitcnt lgkmcnt(0)
	s_add_u32 s0, s4, s0
	s_addc_u32 s1, s5, s1
	s_delay_alu instid0(VALU_DEP_2)
	v_add_co_u32 v0, vcc_lo, s0, v0
	v_add_co_ci_u32_e32 v1, vcc_lo, s1, v1, vcc_lo
	v_add_co_u32 v2, vcc_lo, s2, v2
	v_add_co_ci_u32_e32 v3, vcc_lo, s8, v3, vcc_lo
	global_load_u16 v4, v[0:1], off
	global_load_u16 v2, v[2:3], off
	s_waitcnt vmcnt(0)
	v_fma_mixlo_f16 v2, v2, s3, v4 op_sel_hi:[1,0,1]
	global_store_b16 v[0:1], v2, off
.LBB197_2:
	s_nop 0
	s_sendmsg sendmsg(MSG_DEALLOC_VGPRS)
	s_endpgm
	.section	.rodata,"a",@progbits
	.p2align	6, 0x0
	.amdhsa_kernel _ZL19rocblas_axpy_kernelIiLi256EffPKPKDF16_PKPDF16_EviT2_lT3_lT_lT4_lS9_li
		.amdhsa_group_segment_fixed_size 0
		.amdhsa_private_segment_fixed_size 0
		.amdhsa_kernarg_size 84
		.amdhsa_user_sgpr_count 14
		.amdhsa_user_sgpr_dispatch_ptr 0
		.amdhsa_user_sgpr_queue_ptr 0
		.amdhsa_user_sgpr_kernarg_segment_ptr 1
		.amdhsa_user_sgpr_dispatch_id 0
		.amdhsa_user_sgpr_private_segment_size 0
		.amdhsa_wavefront_size32 1
		.amdhsa_uses_dynamic_stack 0
		.amdhsa_enable_private_segment 0
		.amdhsa_system_sgpr_workgroup_id_x 1
		.amdhsa_system_sgpr_workgroup_id_y 0
		.amdhsa_system_sgpr_workgroup_id_z 1
		.amdhsa_system_sgpr_workgroup_info 0
		.amdhsa_system_vgpr_workitem_id 0
		.amdhsa_next_free_vgpr 8
		.amdhsa_next_free_sgpr 17
		.amdhsa_reserve_vcc 1
		.amdhsa_float_round_mode_32 0
		.amdhsa_float_round_mode_16_64 0
		.amdhsa_float_denorm_mode_32 3
		.amdhsa_float_denorm_mode_16_64 3
		.amdhsa_dx10_clamp 1
		.amdhsa_ieee_mode 1
		.amdhsa_fp16_overflow 0
		.amdhsa_workgroup_processor_mode 1
		.amdhsa_memory_ordered 1
		.amdhsa_forward_progress 0
		.amdhsa_shared_vgpr_count 0
		.amdhsa_exception_fp_ieee_invalid_op 0
		.amdhsa_exception_fp_denorm_src 0
		.amdhsa_exception_fp_ieee_div_zero 0
		.amdhsa_exception_fp_ieee_overflow 0
		.amdhsa_exception_fp_ieee_underflow 0
		.amdhsa_exception_fp_ieee_inexact 0
		.amdhsa_exception_int_div_zero 0
	.end_amdhsa_kernel
	.section	.text._ZL19rocblas_axpy_kernelIiLi256EffPKPKDF16_PKPDF16_EviT2_lT3_lT_lT4_lS9_li,"axG",@progbits,_ZL19rocblas_axpy_kernelIiLi256EffPKPKDF16_PKPDF16_EviT2_lT3_lT_lT4_lS9_li,comdat
.Lfunc_end197:
	.size	_ZL19rocblas_axpy_kernelIiLi256EffPKPKDF16_PKPDF16_EviT2_lT3_lT_lT4_lS9_li, .Lfunc_end197-_ZL19rocblas_axpy_kernelIiLi256EffPKPKDF16_PKPDF16_EviT2_lT3_lT_lT4_lS9_li
                                        ; -- End function
	.section	.AMDGPU.csdata,"",@progbits
; Kernel info:
; codeLenInByte = 328
; NumSgprs: 19
; NumVgprs: 8
; ScratchSize: 0
; MemoryBound: 0
; FloatMode: 240
; IeeeMode: 1
; LDSByteSize: 0 bytes/workgroup (compile time only)
; SGPRBlocks: 2
; VGPRBlocks: 0
; NumSGPRsForWavesPerEU: 19
; NumVGPRsForWavesPerEU: 8
; Occupancy: 16
; WaveLimiterHint : 1
; COMPUTE_PGM_RSRC2:SCRATCH_EN: 0
; COMPUTE_PGM_RSRC2:USER_SGPR: 14
; COMPUTE_PGM_RSRC2:TRAP_HANDLER: 0
; COMPUTE_PGM_RSRC2:TGID_X_EN: 1
; COMPUTE_PGM_RSRC2:TGID_Y_EN: 0
; COMPUTE_PGM_RSRC2:TGID_Z_EN: 1
; COMPUTE_PGM_RSRC2:TIDIG_COMP_CNT: 0
	.section	.text._ZL19rocblas_axpy_kernelIlLi256EfPKfPKPKDF16_PKPDF16_EviT2_lT3_lT_lT4_lSB_li,"axG",@progbits,_ZL19rocblas_axpy_kernelIlLi256EfPKfPKPKDF16_PKPDF16_EviT2_lT3_lT_lT4_lSB_li,comdat
	.globl	_ZL19rocblas_axpy_kernelIlLi256EfPKfPKPKDF16_PKPDF16_EviT2_lT3_lT_lT4_lSB_li ; -- Begin function _ZL19rocblas_axpy_kernelIlLi256EfPKfPKPKDF16_PKPDF16_EviT2_lT3_lT_lT4_lSB_li
	.p2align	8
	.type	_ZL19rocblas_axpy_kernelIlLi256EfPKfPKPKDF16_PKPDF16_EviT2_lT3_lT_lT4_lSB_li,@function
_ZL19rocblas_axpy_kernelIlLi256EfPKfPKPKDF16_PKPDF16_EviT2_lT3_lT_lT4_lSB_li: ; @_ZL19rocblas_axpy_kernelIlLi256EfPKfPKPKDF16_PKPDF16_EviT2_lT3_lT_lT4_lSB_li
; %bb.0:
	s_clause 0x1
	s_load_b128 s[4:7], s[0:1], 0x8
	s_load_b32 s10, s[0:1], 0x0
	v_lshl_or_b32 v0, s14, 8, v0
	v_mov_b32_e32 v1, 0
	s_waitcnt lgkmcnt(0)
	s_mul_i32 s3, s15, s7
	s_mul_hi_u32 s7, s15, s6
	s_mul_i32 s6, s15, s6
	s_add_i32 s7, s7, s3
	s_ashr_i32 s11, s10, 31
	s_lshl_b64 s[6:7], s[6:7], 2
	v_cmp_gt_i64_e32 vcc_lo, s[10:11], v[0:1]
	s_add_u32 s4, s4, s6
	s_addc_u32 s5, s5, s7
	s_mov_b32 s3, 0
	s_load_b32 s8, s[4:5], 0x0
	s_waitcnt lgkmcnt(0)
	v_cmp_neq_f32_e64 s4, s8, 0
	s_delay_alu instid0(VALU_DEP_1) | instskip(NEXT) | instid1(SALU_CYCLE_1)
	s_and_b32 s4, vcc_lo, s4
	s_and_saveexec_b32 s5, s4
	s_cbranch_execz .LBB198_2
; %bb.1:
	s_clause 0x1
	s_load_b64 s[10:11], s[0:1], 0x18
	s_load_b128 s[4:7], s[0:1], 0x40
	s_mov_b32 s2, s15
	s_load_b128 s[12:15], s[0:1], 0x20
	s_lshl_b64 s[2:3], s[2:3], 3
	s_waitcnt lgkmcnt(0)
	s_add_u32 s10, s10, s2
	s_addc_u32 s11, s11, s3
	v_mad_u64_u32 v[1:2], null, v0, s6, 0
	s_load_b64 s[10:11], s[10:11], 0x0
	s_load_b64 s[0:1], s[0:1], 0x38
	v_mad_u64_u32 v[3:4], null, v0, s14, 0
	s_lshl_b64 s[12:13], s[12:13], 1
	s_delay_alu instid0(VALU_DEP_1) | instskip(NEXT) | instid1(VALU_DEP_1)
	v_mad_u64_u32 v[5:6], null, v0, s7, v[2:3]
	v_mad_u64_u32 v[6:7], null, v0, s15, v[4:5]
	s_waitcnt lgkmcnt(0)
	s_add_u32 s6, s12, s10
	s_addc_u32 s9, s13, s11
	s_add_u32 s0, s0, s2
	s_addc_u32 s1, s1, s3
	v_mov_b32_e32 v2, v5
	s_load_b64 s[0:1], s[0:1], 0x0
	v_mov_b32_e32 v4, v6
	s_lshl_b64 s[2:3], s[4:5], 1
	s_delay_alu instid0(VALU_DEP_2) | instskip(NEXT) | instid1(VALU_DEP_2)
	v_lshlrev_b64 v[0:1], 1, v[1:2]
	v_lshlrev_b64 v[2:3], 1, v[3:4]
	s_waitcnt lgkmcnt(0)
	s_add_u32 s0, s2, s0
	s_addc_u32 s1, s3, s1
	s_delay_alu instid0(VALU_DEP_2)
	v_add_co_u32 v0, vcc_lo, s0, v0
	v_add_co_ci_u32_e32 v1, vcc_lo, s1, v1, vcc_lo
	v_add_co_u32 v2, vcc_lo, s6, v2
	v_add_co_ci_u32_e32 v3, vcc_lo, s9, v3, vcc_lo
	global_load_u16 v4, v[0:1], off
	global_load_u16 v2, v[2:3], off
	s_waitcnt vmcnt(0)
	v_fma_mixlo_f16 v2, s8, v2, v4 op_sel_hi:[0,1,1]
	global_store_b16 v[0:1], v2, off
.LBB198_2:
	s_nop 0
	s_sendmsg sendmsg(MSG_DEALLOC_VGPRS)
	s_endpgm
	.section	.rodata,"a",@progbits
	.p2align	6, 0x0
	.amdhsa_kernel _ZL19rocblas_axpy_kernelIlLi256EfPKfPKPKDF16_PKPDF16_EviT2_lT3_lT_lT4_lSB_li
		.amdhsa_group_segment_fixed_size 0
		.amdhsa_private_segment_fixed_size 0
		.amdhsa_kernarg_size 92
		.amdhsa_user_sgpr_count 14
		.amdhsa_user_sgpr_dispatch_ptr 0
		.amdhsa_user_sgpr_queue_ptr 0
		.amdhsa_user_sgpr_kernarg_segment_ptr 1
		.amdhsa_user_sgpr_dispatch_id 0
		.amdhsa_user_sgpr_private_segment_size 0
		.amdhsa_wavefront_size32 1
		.amdhsa_uses_dynamic_stack 0
		.amdhsa_enable_private_segment 0
		.amdhsa_system_sgpr_workgroup_id_x 1
		.amdhsa_system_sgpr_workgroup_id_y 0
		.amdhsa_system_sgpr_workgroup_id_z 1
		.amdhsa_system_sgpr_workgroup_info 0
		.amdhsa_system_vgpr_workitem_id 0
		.amdhsa_next_free_vgpr 8
		.amdhsa_next_free_sgpr 16
		.amdhsa_reserve_vcc 1
		.amdhsa_float_round_mode_32 0
		.amdhsa_float_round_mode_16_64 0
		.amdhsa_float_denorm_mode_32 3
		.amdhsa_float_denorm_mode_16_64 3
		.amdhsa_dx10_clamp 1
		.amdhsa_ieee_mode 1
		.amdhsa_fp16_overflow 0
		.amdhsa_workgroup_processor_mode 1
		.amdhsa_memory_ordered 1
		.amdhsa_forward_progress 0
		.amdhsa_shared_vgpr_count 0
		.amdhsa_exception_fp_ieee_invalid_op 0
		.amdhsa_exception_fp_denorm_src 0
		.amdhsa_exception_fp_ieee_div_zero 0
		.amdhsa_exception_fp_ieee_overflow 0
		.amdhsa_exception_fp_ieee_underflow 0
		.amdhsa_exception_fp_ieee_inexact 0
		.amdhsa_exception_int_div_zero 0
	.end_amdhsa_kernel
	.section	.text._ZL19rocblas_axpy_kernelIlLi256EfPKfPKPKDF16_PKPDF16_EviT2_lT3_lT_lT4_lSB_li,"axG",@progbits,_ZL19rocblas_axpy_kernelIlLi256EfPKfPKPKDF16_PKPDF16_EviT2_lT3_lT_lT4_lSB_li,comdat
.Lfunc_end198:
	.size	_ZL19rocblas_axpy_kernelIlLi256EfPKfPKPKDF16_PKPDF16_EviT2_lT3_lT_lT4_lSB_li, .Lfunc_end198-_ZL19rocblas_axpy_kernelIlLi256EfPKfPKPKDF16_PKPDF16_EviT2_lT3_lT_lT4_lSB_li
                                        ; -- End function
	.section	.AMDGPU.csdata,"",@progbits
; Kernel info:
; codeLenInByte = 364
; NumSgprs: 18
; NumVgprs: 8
; ScratchSize: 0
; MemoryBound: 0
; FloatMode: 240
; IeeeMode: 1
; LDSByteSize: 0 bytes/workgroup (compile time only)
; SGPRBlocks: 2
; VGPRBlocks: 0
; NumSGPRsForWavesPerEU: 18
; NumVGPRsForWavesPerEU: 8
; Occupancy: 16
; WaveLimiterHint : 1
; COMPUTE_PGM_RSRC2:SCRATCH_EN: 0
; COMPUTE_PGM_RSRC2:USER_SGPR: 14
; COMPUTE_PGM_RSRC2:TRAP_HANDLER: 0
; COMPUTE_PGM_RSRC2:TGID_X_EN: 1
; COMPUTE_PGM_RSRC2:TGID_Y_EN: 0
; COMPUTE_PGM_RSRC2:TGID_Z_EN: 1
; COMPUTE_PGM_RSRC2:TIDIG_COMP_CNT: 0
	.section	.text._ZL19rocblas_axpy_kernelIlLi256EffPKPKDF16_PKPDF16_EviT2_lT3_lT_lT4_lS9_li,"axG",@progbits,_ZL19rocblas_axpy_kernelIlLi256EffPKPKDF16_PKPDF16_EviT2_lT3_lT_lT4_lS9_li,comdat
	.globl	_ZL19rocblas_axpy_kernelIlLi256EffPKPKDF16_PKPDF16_EviT2_lT3_lT_lT4_lS9_li ; -- Begin function _ZL19rocblas_axpy_kernelIlLi256EffPKPKDF16_PKPDF16_EviT2_lT3_lT_lT4_lS9_li
	.p2align	8
	.type	_ZL19rocblas_axpy_kernelIlLi256EffPKPKDF16_PKPDF16_EviT2_lT3_lT_lT4_lS9_li,@function
_ZL19rocblas_axpy_kernelIlLi256EffPKPKDF16_PKPDF16_EviT2_lT3_lT_lT4_lS9_li: ; @_ZL19rocblas_axpy_kernelIlLi256EffPKPKDF16_PKPDF16_EviT2_lT3_lT_lT4_lS9_li
; %bb.0:
	s_load_b64 s[2:3], s[0:1], 0x0
	v_mov_b32_e32 v1, 0
	v_lshl_or_b32 v0, s14, 8, v0
	s_mov_b32 s9, 0
	s_waitcnt lgkmcnt(0)
	s_ashr_i32 s5, s2, 31
	s_mov_b32 s4, s2
	v_cmp_neq_f32_e64 s2, s3, 0
	v_cmp_gt_i64_e32 vcc_lo, s[4:5], v[0:1]
	s_delay_alu instid0(VALU_DEP_2) | instskip(NEXT) | instid1(SALU_CYCLE_1)
	s_and_b32 s2, s2, vcc_lo
	s_and_saveexec_b32 s4, s2
	s_cbranch_execz .LBB199_2
; %bb.1:
	s_clause 0x1
	s_load_b64 s[12:13], s[0:1], 0x10
	s_load_b128 s[4:7], s[0:1], 0x38
	s_mov_b32 s8, s15
	s_delay_alu instid0(SALU_CYCLE_1)
	s_lshl_b64 s[14:15], s[8:9], 3
	s_load_b128 s[8:11], s[0:1], 0x18
	s_waitcnt lgkmcnt(0)
	s_add_u32 s12, s12, s14
	s_addc_u32 s13, s13, s15
	v_mad_u64_u32 v[1:2], null, v0, s6, 0
	s_load_b64 s[12:13], s[12:13], 0x0
	s_load_b64 s[0:1], s[0:1], 0x30
	v_mad_u64_u32 v[3:4], null, v0, s10, 0
	s_lshl_b64 s[8:9], s[8:9], 1
	s_delay_alu instid0(VALU_DEP_1) | instskip(NEXT) | instid1(VALU_DEP_1)
	v_mad_u64_u32 v[5:6], null, v0, s7, v[2:3]
	v_mad_u64_u32 v[6:7], null, v0, s11, v[4:5]
	s_waitcnt lgkmcnt(0)
	s_add_u32 s2, s8, s12
	s_addc_u32 s6, s9, s13
	s_add_u32 s0, s0, s14
	s_addc_u32 s1, s1, s15
	v_mov_b32_e32 v2, v5
	s_load_b64 s[0:1], s[0:1], 0x0
	v_mov_b32_e32 v4, v6
	s_lshl_b64 s[4:5], s[4:5], 1
	s_delay_alu instid0(VALU_DEP_2) | instskip(NEXT) | instid1(VALU_DEP_2)
	v_lshlrev_b64 v[0:1], 1, v[1:2]
	v_lshlrev_b64 v[2:3], 1, v[3:4]
	s_waitcnt lgkmcnt(0)
	s_add_u32 s0, s4, s0
	s_addc_u32 s1, s5, s1
	s_delay_alu instid0(VALU_DEP_2)
	v_add_co_u32 v0, vcc_lo, s0, v0
	v_add_co_ci_u32_e32 v1, vcc_lo, s1, v1, vcc_lo
	v_add_co_u32 v2, vcc_lo, s2, v2
	v_add_co_ci_u32_e32 v3, vcc_lo, s6, v3, vcc_lo
	global_load_u16 v4, v[0:1], off
	global_load_u16 v2, v[2:3], off
	s_waitcnt vmcnt(0)
	v_fma_mixlo_f16 v2, v2, s3, v4 op_sel_hi:[1,0,1]
	global_store_b16 v[0:1], v2, off
.LBB199_2:
	s_nop 0
	s_sendmsg sendmsg(MSG_DEALLOC_VGPRS)
	s_endpgm
	.section	.rodata,"a",@progbits
	.p2align	6, 0x0
	.amdhsa_kernel _ZL19rocblas_axpy_kernelIlLi256EffPKPKDF16_PKPDF16_EviT2_lT3_lT_lT4_lS9_li
		.amdhsa_group_segment_fixed_size 0
		.amdhsa_private_segment_fixed_size 0
		.amdhsa_kernarg_size 84
		.amdhsa_user_sgpr_count 14
		.amdhsa_user_sgpr_dispatch_ptr 0
		.amdhsa_user_sgpr_queue_ptr 0
		.amdhsa_user_sgpr_kernarg_segment_ptr 1
		.amdhsa_user_sgpr_dispatch_id 0
		.amdhsa_user_sgpr_private_segment_size 0
		.amdhsa_wavefront_size32 1
		.amdhsa_uses_dynamic_stack 0
		.amdhsa_enable_private_segment 0
		.amdhsa_system_sgpr_workgroup_id_x 1
		.amdhsa_system_sgpr_workgroup_id_y 0
		.amdhsa_system_sgpr_workgroup_id_z 1
		.amdhsa_system_sgpr_workgroup_info 0
		.amdhsa_system_vgpr_workitem_id 0
		.amdhsa_next_free_vgpr 8
		.amdhsa_next_free_sgpr 16
		.amdhsa_reserve_vcc 1
		.amdhsa_float_round_mode_32 0
		.amdhsa_float_round_mode_16_64 0
		.amdhsa_float_denorm_mode_32 3
		.amdhsa_float_denorm_mode_16_64 3
		.amdhsa_dx10_clamp 1
		.amdhsa_ieee_mode 1
		.amdhsa_fp16_overflow 0
		.amdhsa_workgroup_processor_mode 1
		.amdhsa_memory_ordered 1
		.amdhsa_forward_progress 0
		.amdhsa_shared_vgpr_count 0
		.amdhsa_exception_fp_ieee_invalid_op 0
		.amdhsa_exception_fp_denorm_src 0
		.amdhsa_exception_fp_ieee_div_zero 0
		.amdhsa_exception_fp_ieee_overflow 0
		.amdhsa_exception_fp_ieee_underflow 0
		.amdhsa_exception_fp_ieee_inexact 0
		.amdhsa_exception_int_div_zero 0
	.end_amdhsa_kernel
	.section	.text._ZL19rocblas_axpy_kernelIlLi256EffPKPKDF16_PKPDF16_EviT2_lT3_lT_lT4_lS9_li,"axG",@progbits,_ZL19rocblas_axpy_kernelIlLi256EffPKPKDF16_PKPDF16_EviT2_lT3_lT_lT4_lS9_li,comdat
.Lfunc_end199:
	.size	_ZL19rocblas_axpy_kernelIlLi256EffPKPKDF16_PKPDF16_EviT2_lT3_lT_lT4_lS9_li, .Lfunc_end199-_ZL19rocblas_axpy_kernelIlLi256EffPKPKDF16_PKPDF16_EviT2_lT3_lT_lT4_lS9_li
                                        ; -- End function
	.section	.AMDGPU.csdata,"",@progbits
; Kernel info:
; codeLenInByte = 320
; NumSgprs: 18
; NumVgprs: 8
; ScratchSize: 0
; MemoryBound: 0
; FloatMode: 240
; IeeeMode: 1
; LDSByteSize: 0 bytes/workgroup (compile time only)
; SGPRBlocks: 2
; VGPRBlocks: 0
; NumSGPRsForWavesPerEU: 18
; NumVGPRsForWavesPerEU: 8
; Occupancy: 16
; WaveLimiterHint : 1
; COMPUTE_PGM_RSRC2:SCRATCH_EN: 0
; COMPUTE_PGM_RSRC2:USER_SGPR: 14
; COMPUTE_PGM_RSRC2:TRAP_HANDLER: 0
; COMPUTE_PGM_RSRC2:TGID_X_EN: 1
; COMPUTE_PGM_RSRC2:TGID_Y_EN: 0
; COMPUTE_PGM_RSRC2:TGID_Z_EN: 1
; COMPUTE_PGM_RSRC2:TIDIG_COMP_CNT: 0
	.text
	.p2alignl 7, 3214868480
	.fill 96, 4, 3214868480
	.type	__hip_cuid_e5348dd3208c06a7,@object ; @__hip_cuid_e5348dd3208c06a7
	.section	.bss,"aw",@nobits
	.globl	__hip_cuid_e5348dd3208c06a7
__hip_cuid_e5348dd3208c06a7:
	.byte	0                               ; 0x0
	.size	__hip_cuid_e5348dd3208c06a7, 1

	.ident	"AMD clang version 19.0.0git (https://github.com/RadeonOpenCompute/llvm-project roc-6.4.0 25133 c7fe45cf4b819c5991fe208aaa96edf142730f1d)"
	.section	".note.GNU-stack","",@progbits
	.addrsig
	.addrsig_sym __hip_cuid_e5348dd3208c06a7
	.amdgpu_metadata
---
amdhsa.kernels:
  - .args:
      - .offset:         0
        .size:           4
        .value_kind:     by_value
      - .address_space:  global
        .offset:         8
        .size:           8
        .value_kind:     global_buffer
      - .offset:         16
        .size:           8
        .value_kind:     by_value
      - .address_space:  global
        .offset:         24
        .size:           8
        .value_kind:     global_buffer
      - .offset:         32
        .size:           8
        .value_kind:     by_value
      - .offset:         40
        .size:           8
        .value_kind:     by_value
      - .address_space:  global
        .offset:         48
        .size:           8
        .value_kind:     global_buffer
      - .offset:         56
        .size:           8
        .value_kind:     by_value
      - .offset:         64
        .size:           8
        .value_kind:     by_value
      - .offset:         72
        .size:           4
        .value_kind:     by_value
    .group_segment_fixed_size: 0
    .kernarg_segment_align: 8
    .kernarg_segment_size: 76
    .language:       OpenCL C
    .language_version:
      - 2
      - 0
    .max_flat_workgroup_size: 256
    .name:           _ZL26rocblas_haxpy_mlt_8_kernelILi256EPKDF16_S1_PDF16_EviT0_lT1_llT2_lli
    .private_segment_fixed_size: 0
    .sgpr_count:     34
    .sgpr_spill_count: 0
    .symbol:         _ZL26rocblas_haxpy_mlt_8_kernelILi256EPKDF16_S1_PDF16_EviT0_lT1_llT2_lli.kd
    .uniform_work_group_size: 1
    .uses_dynamic_stack: false
    .vgpr_count:     11
    .vgpr_spill_count: 0
    .wavefront_size: 32
    .workgroup_processor_mode: 1
  - .args:
      - .offset:         0
        .size:           4
        .value_kind:     by_value
      - .address_space:  global
        .offset:         8
        .size:           8
        .value_kind:     global_buffer
      - .offset:         16
        .size:           8
        .value_kind:     by_value
      - .address_space:  global
        .offset:         24
        .size:           8
        .value_kind:     global_buffer
      - .offset:         32
        .size:           8
        .value_kind:     by_value
      - .offset:         40
        .size:           8
        .value_kind:     by_value
      - .address_space:  global
        .offset:         48
        .size:           8
        .value_kind:     global_buffer
      - .offset:         56
        .size:           8
        .value_kind:     by_value
      - .offset:         64
        .size:           8
        .value_kind:     by_value
      - .offset:         72
        .size:           4
        .value_kind:     by_value
    .group_segment_fixed_size: 0
    .kernarg_segment_align: 8
    .kernarg_segment_size: 76
    .language:       OpenCL C
    .language_version:
      - 2
      - 0
    .max_flat_workgroup_size: 256
    .name:           _ZL26rocblas_haxpy_mod_8_kernelILi256EPKDF16_S1_PDF16_EviT0_lT1_llT2_lli
    .private_segment_fixed_size: 0
    .sgpr_count:     34
    .sgpr_spill_count: 0
    .symbol:         _ZL26rocblas_haxpy_mod_8_kernelILi256EPKDF16_S1_PDF16_EviT0_lT1_llT2_lli.kd
    .uniform_work_group_size: 1
    .uses_dynamic_stack: false
    .vgpr_count:     5
    .vgpr_spill_count: 0
    .wavefront_size: 32
    .workgroup_processor_mode: 1
  - .args:
      - .offset:         0
        .size:           4
        .value_kind:     by_value
      - .offset:         4
        .size:           2
        .value_kind:     by_value
      - .offset:         8
        .size:           8
        .value_kind:     by_value
      - .address_space:  global
        .offset:         16
        .size:           8
        .value_kind:     global_buffer
      - .offset:         24
        .size:           8
        .value_kind:     by_value
      - .offset:         32
        .size:           8
        .value_kind:     by_value
      - .address_space:  global
        .offset:         40
        .size:           8
        .value_kind:     global_buffer
      - .offset:         48
        .size:           8
        .value_kind:     by_value
      - .offset:         56
        .size:           8
        .value_kind:     by_value
      - .offset:         64
        .size:           4
        .value_kind:     by_value
    .group_segment_fixed_size: 0
    .kernarg_segment_align: 8
    .kernarg_segment_size: 68
    .language:       OpenCL C
    .language_version:
      - 2
      - 0
    .max_flat_workgroup_size: 256
    .name:           _ZL26rocblas_haxpy_mlt_8_kernelILi256EDF16_PKDF16_PDF16_EviT0_lT1_llT2_lli
    .private_segment_fixed_size: 0
    .sgpr_count:     22
    .sgpr_spill_count: 0
    .symbol:         _ZL26rocblas_haxpy_mlt_8_kernelILi256EDF16_PKDF16_PDF16_EviT0_lT1_llT2_lli.kd
    .uniform_work_group_size: 1
    .uses_dynamic_stack: false
    .vgpr_count:     10
    .vgpr_spill_count: 0
    .wavefront_size: 32
    .workgroup_processor_mode: 1
  - .args:
      - .offset:         0
        .size:           4
        .value_kind:     by_value
      - .offset:         4
        .size:           2
        .value_kind:     by_value
      - .offset:         8
        .size:           8
        .value_kind:     by_value
      - .address_space:  global
        .offset:         16
        .size:           8
        .value_kind:     global_buffer
      - .offset:         24
        .size:           8
        .value_kind:     by_value
      - .offset:         32
        .size:           8
        .value_kind:     by_value
      - .address_space:  global
        .offset:         40
        .size:           8
        .value_kind:     global_buffer
      - .offset:         48
        .size:           8
        .value_kind:     by_value
      - .offset:         56
        .size:           8
        .value_kind:     by_value
      - .offset:         64
        .size:           4
        .value_kind:     by_value
    .group_segment_fixed_size: 0
    .kernarg_segment_align: 8
    .kernarg_segment_size: 68
    .language:       OpenCL C
    .language_version:
      - 2
      - 0
    .max_flat_workgroup_size: 256
    .name:           _ZL26rocblas_haxpy_mod_8_kernelILi256EDF16_PKDF16_PDF16_EviT0_lT1_llT2_lli
    .private_segment_fixed_size: 0
    .sgpr_count:     22
    .sgpr_spill_count: 0
    .symbol:         _ZL26rocblas_haxpy_mod_8_kernelILi256EDF16_PKDF16_PDF16_EviT0_lT1_llT2_lli.kd
    .uniform_work_group_size: 1
    .uses_dynamic_stack: false
    .vgpr_count:     4
    .vgpr_spill_count: 0
    .wavefront_size: 32
    .workgroup_processor_mode: 1
  - .args:
      - .offset:         0
        .size:           4
        .value_kind:     by_value
      - .address_space:  global
        .offset:         8
        .size:           8
        .value_kind:     global_buffer
      - .offset:         16
        .size:           8
        .value_kind:     by_value
      - .actual_access:  read_only
        .address_space:  global
        .offset:         24
        .size:           8
        .value_kind:     global_buffer
      - .offset:         32
        .size:           8
        .value_kind:     by_value
      - .offset:         40
        .size:           8
        .value_kind:     by_value
      - .address_space:  global
        .offset:         48
        .size:           8
        .value_kind:     global_buffer
      - .offset:         56
        .size:           8
        .value_kind:     by_value
      - .offset:         64
        .size:           8
        .value_kind:     by_value
      - .offset:         72
        .size:           4
        .value_kind:     by_value
    .group_segment_fixed_size: 0
    .kernarg_segment_align: 8
    .kernarg_segment_size: 76
    .language:       OpenCL C
    .language_version:
      - 2
      - 0
    .max_flat_workgroup_size: 256
    .name:           _ZL22rocblas_saxpy_2_kernelILi256EDF16_PKDF16_S1_PDF16_EviT1_lT2_llT3_lli
    .private_segment_fixed_size: 0
    .sgpr_count:     20
    .sgpr_spill_count: 0
    .symbol:         _ZL22rocblas_saxpy_2_kernelILi256EDF16_PKDF16_S1_PDF16_EviT1_lT2_llT3_lli.kd
    .uniform_work_group_size: 1
    .uses_dynamic_stack: false
    .vgpr_count:     10
    .vgpr_spill_count: 0
    .wavefront_size: 32
    .workgroup_processor_mode: 1
  - .args:
      - .offset:         0
        .size:           4
        .value_kind:     by_value
      - .offset:         4
        .size:           2
        .value_kind:     by_value
      - .offset:         8
        .size:           8
        .value_kind:     by_value
      - .actual_access:  read_only
        .address_space:  global
        .offset:         16
        .size:           8
        .value_kind:     global_buffer
      - .offset:         24
        .size:           8
        .value_kind:     by_value
      - .offset:         32
        .size:           8
        .value_kind:     by_value
      - .address_space:  global
        .offset:         40
        .size:           8
        .value_kind:     global_buffer
      - .offset:         48
        .size:           8
        .value_kind:     by_value
      - .offset:         56
        .size:           8
        .value_kind:     by_value
      - .offset:         64
        .size:           4
        .value_kind:     by_value
    .group_segment_fixed_size: 0
    .kernarg_segment_align: 8
    .kernarg_segment_size: 68
    .language:       OpenCL C
    .language_version:
      - 2
      - 0
    .max_flat_workgroup_size: 256
    .name:           _ZL22rocblas_saxpy_2_kernelILi256EDF16_DF16_PKDF16_PDF16_EviT1_lT2_llT3_lli
    .private_segment_fixed_size: 0
    .sgpr_count:     19
    .sgpr_spill_count: 0
    .symbol:         _ZL22rocblas_saxpy_2_kernelILi256EDF16_DF16_PKDF16_PDF16_EviT1_lT2_llT3_lli.kd
    .uniform_work_group_size: 1
    .uses_dynamic_stack: false
    .vgpr_count:     9
    .vgpr_spill_count: 0
    .wavefront_size: 32
    .workgroup_processor_mode: 1
  - .args:
      - .offset:         0
        .size:           4
        .value_kind:     by_value
      - .address_space:  global
        .offset:         8
        .size:           8
        .value_kind:     global_buffer
      - .offset:         16
        .size:           8
        .value_kind:     by_value
      - .address_space:  global
        .offset:         24
        .size:           8
        .value_kind:     global_buffer
      - .offset:         32
        .size:           8
        .value_kind:     by_value
      - .offset:         40
        .size:           4
        .value_kind:     by_value
      - .offset:         48
        .size:           8
        .value_kind:     by_value
      - .address_space:  global
        .offset:         56
        .size:           8
        .value_kind:     global_buffer
      - .offset:         64
        .size:           8
        .value_kind:     by_value
      - .offset:         72
        .size:           4
        .value_kind:     by_value
      - .offset:         80
        .size:           8
        .value_kind:     by_value
      - .offset:         88
        .size:           4
        .value_kind:     by_value
    .group_segment_fixed_size: 0
    .kernarg_segment_align: 8
    .kernarg_segment_size: 92
    .language:       OpenCL C
    .language_version:
      - 2
      - 0
    .max_flat_workgroup_size: 1024
    .name:           _ZL27rocblas_axpy_kernel_batchedIiLi128ELi8EDF16_PKDF16_S1_PDF16_EviT3_lT4_lT_lT5_lS5_li
    .private_segment_fixed_size: 0
    .sgpr_count:     22
    .sgpr_spill_count: 0
    .symbol:         _ZL27rocblas_axpy_kernel_batchedIiLi128ELi8EDF16_PKDF16_S1_PDF16_EviT3_lT4_lT_lT5_lS5_li.kd
    .uniform_work_group_size: 1
    .uses_dynamic_stack: false
    .vgpr_count:     14
    .vgpr_spill_count: 0
    .wavefront_size: 32
    .workgroup_processor_mode: 1
  - .args:
      - .offset:         0
        .size:           4
        .value_kind:     by_value
      - .offset:         4
        .size:           2
        .value_kind:     by_value
      - .offset:         8
        .size:           8
        .value_kind:     by_value
      - .address_space:  global
        .offset:         16
        .size:           8
        .value_kind:     global_buffer
      - .offset:         24
        .size:           8
        .value_kind:     by_value
      - .offset:         32
        .size:           4
        .value_kind:     by_value
      - .offset:         40
        .size:           8
        .value_kind:     by_value
      - .address_space:  global
        .offset:         48
        .size:           8
        .value_kind:     global_buffer
      - .offset:         56
        .size:           8
        .value_kind:     by_value
      - .offset:         64
        .size:           4
        .value_kind:     by_value
      - .offset:         72
        .size:           8
        .value_kind:     by_value
      - .offset:         80
        .size:           4
        .value_kind:     by_value
    .group_segment_fixed_size: 0
    .kernarg_segment_align: 8
    .kernarg_segment_size: 84
    .language:       OpenCL C
    .language_version:
      - 2
      - 0
    .max_flat_workgroup_size: 1024
    .name:           _ZL27rocblas_axpy_kernel_batchedIiLi128ELi8EDF16_DF16_PKDF16_PDF16_EviT3_lT4_lT_lT5_lS5_li
    .private_segment_fixed_size: 0
    .sgpr_count:     22
    .sgpr_spill_count: 0
    .symbol:         _ZL27rocblas_axpy_kernel_batchedIiLi128ELi8EDF16_DF16_PKDF16_PDF16_EviT3_lT4_lT_lT5_lS5_li.kd
    .uniform_work_group_size: 1
    .uses_dynamic_stack: false
    .vgpr_count:     13
    .vgpr_spill_count: 0
    .wavefront_size: 32
    .workgroup_processor_mode: 1
  - .args:
      - .offset:         0
        .size:           4
        .value_kind:     by_value
      - .address_space:  global
        .offset:         8
        .size:           8
        .value_kind:     global_buffer
      - .offset:         16
        .size:           8
        .value_kind:     by_value
      - .actual_access:  read_only
        .address_space:  global
        .offset:         24
        .size:           8
        .value_kind:     global_buffer
      - .offset:         32
        .size:           8
        .value_kind:     by_value
      - .offset:         40
        .size:           4
        .value_kind:     by_value
      - .offset:         48
        .size:           8
        .value_kind:     by_value
      - .address_space:  global
        .offset:         56
        .size:           8
        .value_kind:     global_buffer
      - .offset:         64
        .size:           8
        .value_kind:     by_value
      - .offset:         72
        .size:           4
        .value_kind:     by_value
      - .offset:         80
        .size:           8
        .value_kind:     by_value
      - .offset:         88
        .size:           4
        .value_kind:     by_value
    .group_segment_fixed_size: 0
    .kernarg_segment_align: 8
    .kernarg_segment_size: 92
    .language:       OpenCL C
    .language_version:
      - 2
      - 0
    .max_flat_workgroup_size: 256
    .name:           _ZL19rocblas_axpy_kernelIiLi256EDF16_PKDF16_S1_PDF16_EviT2_lT3_lT_lT4_lS5_li
    .private_segment_fixed_size: 0
    .sgpr_count:     19
    .sgpr_spill_count: 0
    .symbol:         _ZL19rocblas_axpy_kernelIiLi256EDF16_PKDF16_S1_PDF16_EviT2_lT3_lT_lT4_lS5_li.kd
    .uniform_work_group_size: 1
    .uses_dynamic_stack: false
    .vgpr_count:     9
    .vgpr_spill_count: 0
    .wavefront_size: 32
    .workgroup_processor_mode: 1
  - .args:
      - .offset:         0
        .size:           4
        .value_kind:     by_value
      - .offset:         4
        .size:           2
        .value_kind:     by_value
      - .offset:         8
        .size:           8
        .value_kind:     by_value
      - .actual_access:  read_only
        .address_space:  global
        .offset:         16
        .size:           8
        .value_kind:     global_buffer
      - .offset:         24
        .size:           8
        .value_kind:     by_value
      - .offset:         32
        .size:           4
        .value_kind:     by_value
      - .offset:         40
        .size:           8
        .value_kind:     by_value
      - .address_space:  global
        .offset:         48
        .size:           8
        .value_kind:     global_buffer
      - .offset:         56
        .size:           8
        .value_kind:     by_value
      - .offset:         64
        .size:           4
        .value_kind:     by_value
      - .offset:         72
        .size:           8
        .value_kind:     by_value
      - .offset:         80
        .size:           4
        .value_kind:     by_value
    .group_segment_fixed_size: 0
    .kernarg_segment_align: 8
    .kernarg_segment_size: 84
    .language:       OpenCL C
    .language_version:
      - 2
      - 0
    .max_flat_workgroup_size: 256
    .name:           _ZL19rocblas_axpy_kernelIiLi256EDF16_DF16_PKDF16_PDF16_EviT2_lT3_lT_lT4_lS5_li
    .private_segment_fixed_size: 0
    .sgpr_count:     20
    .sgpr_spill_count: 0
    .symbol:         _ZL19rocblas_axpy_kernelIiLi256EDF16_DF16_PKDF16_PDF16_EviT2_lT3_lT_lT4_lS5_li.kd
    .uniform_work_group_size: 1
    .uses_dynamic_stack: false
    .vgpr_count:     8
    .vgpr_spill_count: 0
    .wavefront_size: 32
    .workgroup_processor_mode: 1
  - .args:
      - .offset:         0
        .size:           4
        .value_kind:     by_value
      - .address_space:  global
        .offset:         8
        .size:           8
        .value_kind:     global_buffer
      - .offset:         16
        .size:           8
        .value_kind:     by_value
      - .actual_access:  read_only
        .address_space:  global
        .offset:         24
        .size:           8
        .value_kind:     global_buffer
      - .offset:         32
        .size:           8
        .value_kind:     by_value
      - .offset:         40
        .size:           8
        .value_kind:     by_value
      - .offset:         48
        .size:           8
        .value_kind:     by_value
      - .address_space:  global
        .offset:         56
        .size:           8
        .value_kind:     global_buffer
      - .offset:         64
        .size:           8
        .value_kind:     by_value
      - .offset:         72
        .size:           8
        .value_kind:     by_value
      - .offset:         80
        .size:           8
        .value_kind:     by_value
      - .offset:         88
        .size:           4
        .value_kind:     by_value
    .group_segment_fixed_size: 0
    .kernarg_segment_align: 8
    .kernarg_segment_size: 92
    .language:       OpenCL C
    .language_version:
      - 2
      - 0
    .max_flat_workgroup_size: 256
    .name:           _ZL19rocblas_axpy_kernelIlLi256EDF16_PKDF16_S1_PDF16_EviT2_lT3_lT_lT4_lS5_li
    .private_segment_fixed_size: 0
    .sgpr_count:     22
    .sgpr_spill_count: 0
    .symbol:         _ZL19rocblas_axpy_kernelIlLi256EDF16_PKDF16_S1_PDF16_EviT2_lT3_lT_lT4_lS5_li.kd
    .uniform_work_group_size: 1
    .uses_dynamic_stack: false
    .vgpr_count:     9
    .vgpr_spill_count: 0
    .wavefront_size: 32
    .workgroup_processor_mode: 1
  - .args:
      - .offset:         0
        .size:           4
        .value_kind:     by_value
      - .offset:         4
        .size:           2
        .value_kind:     by_value
      - .offset:         8
        .size:           8
        .value_kind:     by_value
      - .actual_access:  read_only
        .address_space:  global
        .offset:         16
        .size:           8
        .value_kind:     global_buffer
      - .offset:         24
        .size:           8
        .value_kind:     by_value
      - .offset:         32
        .size:           8
        .value_kind:     by_value
      - .offset:         40
        .size:           8
        .value_kind:     by_value
      - .address_space:  global
        .offset:         48
        .size:           8
        .value_kind:     global_buffer
      - .offset:         56
        .size:           8
        .value_kind:     by_value
      - .offset:         64
        .size:           8
        .value_kind:     by_value
      - .offset:         72
        .size:           8
        .value_kind:     by_value
      - .offset:         80
        .size:           4
        .value_kind:     by_value
    .group_segment_fixed_size: 0
    .kernarg_segment_align: 8
    .kernarg_segment_size: 84
    .language:       OpenCL C
    .language_version:
      - 2
      - 0
    .max_flat_workgroup_size: 256
    .name:           _ZL19rocblas_axpy_kernelIlLi256EDF16_DF16_PKDF16_PDF16_EviT2_lT3_lT_lT4_lS5_li
    .private_segment_fixed_size: 0
    .sgpr_count:     22
    .sgpr_spill_count: 0
    .symbol:         _ZL19rocblas_axpy_kernelIlLi256EDF16_DF16_PKDF16_PDF16_EviT2_lT3_lT_lT4_lS5_li.kd
    .uniform_work_group_size: 1
    .uses_dynamic_stack: false
    .vgpr_count:     8
    .vgpr_spill_count: 0
    .wavefront_size: 32
    .workgroup_processor_mode: 1
  - .args:
      - .offset:         0
        .size:           4
        .value_kind:     by_value
      - .address_space:  global
        .offset:         8
        .size:           8
        .value_kind:     global_buffer
      - .offset:         16
        .size:           8
        .value_kind:     by_value
      - .address_space:  global
        .offset:         24
        .size:           8
        .value_kind:     global_buffer
      - .offset:         32
        .size:           8
        .value_kind:     by_value
      - .offset:         40
        .size:           8
        .value_kind:     by_value
      - .address_space:  global
        .offset:         48
        .size:           8
        .value_kind:     global_buffer
      - .offset:         56
        .size:           8
        .value_kind:     by_value
      - .offset:         64
        .size:           8
        .value_kind:     by_value
      - .offset:         72
        .size:           4
        .value_kind:     by_value
    .group_segment_fixed_size: 0
    .kernarg_segment_align: 8
    .kernarg_segment_size: 76
    .language:       OpenCL C
    .language_version:
      - 2
      - 0
    .max_flat_workgroup_size: 256
    .name:           _ZL26rocblas_haxpy_mlt_8_kernelILi256EPKDF16_PKfPfEviT0_lT1_llT2_lli
    .private_segment_fixed_size: 0
    .sgpr_count:     34
    .sgpr_spill_count: 0
    .symbol:         _ZL26rocblas_haxpy_mlt_8_kernelILi256EPKDF16_PKfPfEviT0_lT1_llT2_lli.kd
    .uniform_work_group_size: 1
    .uses_dynamic_stack: false
    .vgpr_count:     11
    .vgpr_spill_count: 0
    .wavefront_size: 32
    .workgroup_processor_mode: 1
  - .args:
      - .offset:         0
        .size:           4
        .value_kind:     by_value
      - .address_space:  global
        .offset:         8
        .size:           8
        .value_kind:     global_buffer
      - .offset:         16
        .size:           8
        .value_kind:     by_value
      - .address_space:  global
        .offset:         24
        .size:           8
        .value_kind:     global_buffer
      - .offset:         32
        .size:           8
        .value_kind:     by_value
      - .offset:         40
        .size:           8
        .value_kind:     by_value
      - .address_space:  global
        .offset:         48
        .size:           8
        .value_kind:     global_buffer
      - .offset:         56
        .size:           8
        .value_kind:     by_value
      - .offset:         64
        .size:           8
        .value_kind:     by_value
      - .offset:         72
        .size:           4
        .value_kind:     by_value
    .group_segment_fixed_size: 0
    .kernarg_segment_align: 8
    .kernarg_segment_size: 76
    .language:       OpenCL C
    .language_version:
      - 2
      - 0
    .max_flat_workgroup_size: 256
    .name:           _ZL26rocblas_haxpy_mod_8_kernelILi256EPKfS1_PfEviT0_lT1_llT2_lli
    .private_segment_fixed_size: 0
    .sgpr_count:     34
    .sgpr_spill_count: 0
    .symbol:         _ZL26rocblas_haxpy_mod_8_kernelILi256EPKfS1_PfEviT0_lT1_llT2_lli.kd
    .uniform_work_group_size: 1
    .uses_dynamic_stack: false
    .vgpr_count:     4
    .vgpr_spill_count: 0
    .wavefront_size: 32
    .workgroup_processor_mode: 1
  - .args:
      - .offset:         0
        .size:           4
        .value_kind:     by_value
      - .offset:         4
        .size:           2
        .value_kind:     by_value
      - .offset:         8
        .size:           8
        .value_kind:     by_value
      - .address_space:  global
        .offset:         16
        .size:           8
        .value_kind:     global_buffer
      - .offset:         24
        .size:           8
        .value_kind:     by_value
      - .offset:         32
        .size:           8
        .value_kind:     by_value
      - .address_space:  global
        .offset:         40
        .size:           8
        .value_kind:     global_buffer
      - .offset:         48
        .size:           8
        .value_kind:     by_value
      - .offset:         56
        .size:           8
        .value_kind:     by_value
      - .offset:         64
        .size:           4
        .value_kind:     by_value
    .group_segment_fixed_size: 0
    .kernarg_segment_align: 8
    .kernarg_segment_size: 68
    .language:       OpenCL C
    .language_version:
      - 2
      - 0
    .max_flat_workgroup_size: 256
    .name:           _ZL26rocblas_haxpy_mlt_8_kernelILi256EDF16_PKfPfEviT0_lT1_llT2_lli
    .private_segment_fixed_size: 0
    .sgpr_count:     22
    .sgpr_spill_count: 0
    .symbol:         _ZL26rocblas_haxpy_mlt_8_kernelILi256EDF16_PKfPfEviT0_lT1_llT2_lli.kd
    .uniform_work_group_size: 1
    .uses_dynamic_stack: false
    .vgpr_count:     10
    .vgpr_spill_count: 0
    .wavefront_size: 32
    .workgroup_processor_mode: 1
  - .args:
      - .offset:         0
        .size:           4
        .value_kind:     by_value
      - .offset:         4
        .size:           4
        .value_kind:     by_value
      - .offset:         8
        .size:           8
        .value_kind:     by_value
      - .address_space:  global
        .offset:         16
        .size:           8
        .value_kind:     global_buffer
      - .offset:         24
        .size:           8
        .value_kind:     by_value
      - .offset:         32
        .size:           8
        .value_kind:     by_value
      - .address_space:  global
        .offset:         40
        .size:           8
        .value_kind:     global_buffer
      - .offset:         48
        .size:           8
        .value_kind:     by_value
      - .offset:         56
        .size:           8
        .value_kind:     by_value
      - .offset:         64
        .size:           4
        .value_kind:     by_value
    .group_segment_fixed_size: 0
    .kernarg_segment_align: 8
    .kernarg_segment_size: 68
    .language:       OpenCL C
    .language_version:
      - 2
      - 0
    .max_flat_workgroup_size: 256
    .name:           _ZL26rocblas_haxpy_mod_8_kernelILi256EfPKfPfEviT0_lT1_llT2_lli
    .private_segment_fixed_size: 0
    .sgpr_count:     22
    .sgpr_spill_count: 0
    .symbol:         _ZL26rocblas_haxpy_mod_8_kernelILi256EfPKfPfEviT0_lT1_llT2_lli.kd
    .uniform_work_group_size: 1
    .uses_dynamic_stack: false
    .vgpr_count:     4
    .vgpr_spill_count: 0
    .wavefront_size: 32
    .workgroup_processor_mode: 1
  - .args:
      - .offset:         0
        .size:           4
        .value_kind:     by_value
      - .address_space:  global
        .offset:         8
        .size:           8
        .value_kind:     global_buffer
      - .offset:         16
        .size:           8
        .value_kind:     by_value
      - .actual_access:  read_only
        .address_space:  global
        .offset:         24
        .size:           8
        .value_kind:     global_buffer
      - .offset:         32
        .size:           8
        .value_kind:     by_value
      - .offset:         40
        .size:           8
        .value_kind:     by_value
      - .address_space:  global
        .offset:         48
        .size:           8
        .value_kind:     global_buffer
      - .offset:         56
        .size:           8
        .value_kind:     by_value
      - .offset:         64
        .size:           8
        .value_kind:     by_value
      - .offset:         72
        .size:           4
        .value_kind:     by_value
    .group_segment_fixed_size: 0
    .kernarg_segment_align: 8
    .kernarg_segment_size: 76
    .language:       OpenCL C
    .language_version:
      - 2
      - 0
    .max_flat_workgroup_size: 256
    .name:           _ZL22rocblas_saxpy_2_kernelILi256EfPKfS1_PfEviT1_lT2_llT3_lli
    .private_segment_fixed_size: 0
    .sgpr_count:     20
    .sgpr_spill_count: 0
    .symbol:         _ZL22rocblas_saxpy_2_kernelILi256EfPKfS1_PfEviT1_lT2_llT3_lli.kd
    .uniform_work_group_size: 1
    .uses_dynamic_stack: false
    .vgpr_count:     10
    .vgpr_spill_count: 0
    .wavefront_size: 32
    .workgroup_processor_mode: 1
  - .args:
      - .offset:         0
        .size:           4
        .value_kind:     by_value
      - .offset:         4
        .size:           4
        .value_kind:     by_value
      - .offset:         8
        .size:           8
        .value_kind:     by_value
      - .actual_access:  read_only
        .address_space:  global
        .offset:         16
        .size:           8
        .value_kind:     global_buffer
      - .offset:         24
        .size:           8
        .value_kind:     by_value
      - .offset:         32
        .size:           8
        .value_kind:     by_value
      - .address_space:  global
        .offset:         40
        .size:           8
        .value_kind:     global_buffer
      - .offset:         48
        .size:           8
        .value_kind:     by_value
      - .offset:         56
        .size:           8
        .value_kind:     by_value
      - .offset:         64
        .size:           4
        .value_kind:     by_value
    .group_segment_fixed_size: 0
    .kernarg_segment_align: 8
    .kernarg_segment_size: 68
    .language:       OpenCL C
    .language_version:
      - 2
      - 0
    .max_flat_workgroup_size: 256
    .name:           _ZL22rocblas_saxpy_2_kernelILi256EffPKfPfEviT1_lT2_llT3_lli
    .private_segment_fixed_size: 0
    .sgpr_count:     19
    .sgpr_spill_count: 0
    .symbol:         _ZL22rocblas_saxpy_2_kernelILi256EffPKfPfEviT1_lT2_llT3_lli.kd
    .uniform_work_group_size: 1
    .uses_dynamic_stack: false
    .vgpr_count:     10
    .vgpr_spill_count: 0
    .wavefront_size: 32
    .workgroup_processor_mode: 1
  - .args:
      - .offset:         0
        .size:           4
        .value_kind:     by_value
      - .address_space:  global
        .offset:         8
        .size:           8
        .value_kind:     global_buffer
      - .offset:         16
        .size:           8
        .value_kind:     by_value
      - .address_space:  global
        .offset:         24
        .size:           8
        .value_kind:     global_buffer
      - .offset:         32
        .size:           8
        .value_kind:     by_value
      - .offset:         40
        .size:           4
        .value_kind:     by_value
      - .offset:         48
        .size:           8
        .value_kind:     by_value
      - .address_space:  global
        .offset:         56
        .size:           8
        .value_kind:     global_buffer
      - .offset:         64
        .size:           8
        .value_kind:     by_value
      - .offset:         72
        .size:           4
        .value_kind:     by_value
      - .offset:         80
        .size:           8
        .value_kind:     by_value
      - .offset:         88
        .size:           4
        .value_kind:     by_value
    .group_segment_fixed_size: 0
    .kernarg_segment_align: 8
    .kernarg_segment_size: 92
    .language:       OpenCL C
    .language_version:
      - 2
      - 0
    .max_flat_workgroup_size: 1024
    .name:           _ZL27rocblas_axpy_kernel_batchedIiLi128ELi8EfPKfS1_PfEviT3_lT4_lT_lT5_lS5_li
    .private_segment_fixed_size: 0
    .sgpr_count:     22
    .sgpr_spill_count: 0
    .symbol:         _ZL27rocblas_axpy_kernel_batchedIiLi128ELi8EfPKfS1_PfEviT3_lT4_lT_lT5_lS5_li.kd
    .uniform_work_group_size: 1
    .uses_dynamic_stack: false
    .vgpr_count:     14
    .vgpr_spill_count: 0
    .wavefront_size: 32
    .workgroup_processor_mode: 1
  - .args:
      - .offset:         0
        .size:           4
        .value_kind:     by_value
      - .offset:         4
        .size:           4
        .value_kind:     by_value
      - .offset:         8
        .size:           8
        .value_kind:     by_value
      - .address_space:  global
        .offset:         16
        .size:           8
        .value_kind:     global_buffer
      - .offset:         24
        .size:           8
        .value_kind:     by_value
      - .offset:         32
        .size:           4
        .value_kind:     by_value
      - .offset:         40
        .size:           8
        .value_kind:     by_value
      - .address_space:  global
        .offset:         48
        .size:           8
        .value_kind:     global_buffer
      - .offset:         56
        .size:           8
        .value_kind:     by_value
      - .offset:         64
        .size:           4
        .value_kind:     by_value
      - .offset:         72
        .size:           8
        .value_kind:     by_value
      - .offset:         80
        .size:           4
        .value_kind:     by_value
    .group_segment_fixed_size: 0
    .kernarg_segment_align: 8
    .kernarg_segment_size: 84
    .language:       OpenCL C
    .language_version:
      - 2
      - 0
    .max_flat_workgroup_size: 1024
    .name:           _ZL27rocblas_axpy_kernel_batchedIiLi128ELi8EffPKfPfEviT3_lT4_lT_lT5_lS5_li
    .private_segment_fixed_size: 0
    .sgpr_count:     22
    .sgpr_spill_count: 0
    .symbol:         _ZL27rocblas_axpy_kernel_batchedIiLi128ELi8EffPKfPfEviT3_lT4_lT_lT5_lS5_li.kd
    .uniform_work_group_size: 1
    .uses_dynamic_stack: false
    .vgpr_count:     13
    .vgpr_spill_count: 0
    .wavefront_size: 32
    .workgroup_processor_mode: 1
  - .args:
      - .offset:         0
        .size:           4
        .value_kind:     by_value
      - .address_space:  global
        .offset:         8
        .size:           8
        .value_kind:     global_buffer
      - .offset:         16
        .size:           8
        .value_kind:     by_value
      - .actual_access:  read_only
        .address_space:  global
        .offset:         24
        .size:           8
        .value_kind:     global_buffer
      - .offset:         32
        .size:           8
        .value_kind:     by_value
      - .offset:         40
        .size:           4
        .value_kind:     by_value
      - .offset:         48
        .size:           8
        .value_kind:     by_value
      - .address_space:  global
        .offset:         56
        .size:           8
        .value_kind:     global_buffer
      - .offset:         64
        .size:           8
        .value_kind:     by_value
      - .offset:         72
        .size:           4
        .value_kind:     by_value
      - .offset:         80
        .size:           8
        .value_kind:     by_value
      - .offset:         88
        .size:           4
        .value_kind:     by_value
    .group_segment_fixed_size: 0
    .kernarg_segment_align: 8
    .kernarg_segment_size: 92
    .language:       OpenCL C
    .language_version:
      - 2
      - 0
    .max_flat_workgroup_size: 256
    .name:           _ZL19rocblas_axpy_kernelIiLi256EfPKfS1_PfEviT2_lT3_lT_lT4_lS5_li
    .private_segment_fixed_size: 0
    .sgpr_count:     20
    .sgpr_spill_count: 0
    .symbol:         _ZL19rocblas_axpy_kernelIiLi256EfPKfS1_PfEviT2_lT3_lT_lT4_lS5_li.kd
    .uniform_work_group_size: 1
    .uses_dynamic_stack: false
    .vgpr_count:     8
    .vgpr_spill_count: 0
    .wavefront_size: 32
    .workgroup_processor_mode: 1
  - .args:
      - .offset:         0
        .size:           4
        .value_kind:     by_value
      - .offset:         4
        .size:           4
        .value_kind:     by_value
      - .offset:         8
        .size:           8
        .value_kind:     by_value
      - .actual_access:  read_only
        .address_space:  global
        .offset:         16
        .size:           8
        .value_kind:     global_buffer
      - .offset:         24
        .size:           8
        .value_kind:     by_value
      - .offset:         32
        .size:           4
        .value_kind:     by_value
      - .offset:         40
        .size:           8
        .value_kind:     by_value
      - .address_space:  global
        .offset:         48
        .size:           8
        .value_kind:     global_buffer
      - .offset:         56
        .size:           8
        .value_kind:     by_value
      - .offset:         64
        .size:           4
        .value_kind:     by_value
      - .offset:         72
        .size:           8
        .value_kind:     by_value
      - .offset:         80
        .size:           4
        .value_kind:     by_value
    .group_segment_fixed_size: 0
    .kernarg_segment_align: 8
    .kernarg_segment_size: 84
    .language:       OpenCL C
    .language_version:
      - 2
      - 0
    .max_flat_workgroup_size: 256
    .name:           _ZL19rocblas_axpy_kernelIiLi256EffPKfPfEviT2_lT3_lT_lT4_lS5_li
    .private_segment_fixed_size: 0
    .sgpr_count:     20
    .sgpr_spill_count: 0
    .symbol:         _ZL19rocblas_axpy_kernelIiLi256EffPKfPfEviT2_lT3_lT_lT4_lS5_li.kd
    .uniform_work_group_size: 1
    .uses_dynamic_stack: false
    .vgpr_count:     8
    .vgpr_spill_count: 0
    .wavefront_size: 32
    .workgroup_processor_mode: 1
  - .args:
      - .offset:         0
        .size:           4
        .value_kind:     by_value
      - .address_space:  global
        .offset:         8
        .size:           8
        .value_kind:     global_buffer
      - .offset:         16
        .size:           8
        .value_kind:     by_value
      - .actual_access:  read_only
        .address_space:  global
        .offset:         24
        .size:           8
        .value_kind:     global_buffer
      - .offset:         32
        .size:           8
        .value_kind:     by_value
      - .offset:         40
        .size:           8
        .value_kind:     by_value
      - .offset:         48
        .size:           8
        .value_kind:     by_value
      - .address_space:  global
        .offset:         56
        .size:           8
        .value_kind:     global_buffer
      - .offset:         64
        .size:           8
        .value_kind:     by_value
      - .offset:         72
        .size:           8
        .value_kind:     by_value
      - .offset:         80
        .size:           8
        .value_kind:     by_value
      - .offset:         88
        .size:           4
        .value_kind:     by_value
    .group_segment_fixed_size: 0
    .kernarg_segment_align: 8
    .kernarg_segment_size: 92
    .language:       OpenCL C
    .language_version:
      - 2
      - 0
    .max_flat_workgroup_size: 256
    .name:           _ZL19rocblas_axpy_kernelIlLi256EfPKfS1_PfEviT2_lT3_lT_lT4_lS5_li
    .private_segment_fixed_size: 0
    .sgpr_count:     22
    .sgpr_spill_count: 0
    .symbol:         _ZL19rocblas_axpy_kernelIlLi256EfPKfS1_PfEviT2_lT3_lT_lT4_lS5_li.kd
    .uniform_work_group_size: 1
    .uses_dynamic_stack: false
    .vgpr_count:     8
    .vgpr_spill_count: 0
    .wavefront_size: 32
    .workgroup_processor_mode: 1
  - .args:
      - .offset:         0
        .size:           4
        .value_kind:     by_value
      - .offset:         4
        .size:           4
        .value_kind:     by_value
      - .offset:         8
        .size:           8
        .value_kind:     by_value
      - .actual_access:  read_only
        .address_space:  global
        .offset:         16
        .size:           8
        .value_kind:     global_buffer
      - .offset:         24
        .size:           8
        .value_kind:     by_value
      - .offset:         32
        .size:           8
        .value_kind:     by_value
      - .offset:         40
        .size:           8
        .value_kind:     by_value
      - .address_space:  global
        .offset:         48
        .size:           8
        .value_kind:     global_buffer
      - .offset:         56
        .size:           8
        .value_kind:     by_value
      - .offset:         64
        .size:           8
        .value_kind:     by_value
      - .offset:         72
        .size:           8
        .value_kind:     by_value
      - .offset:         80
        .size:           4
        .value_kind:     by_value
    .group_segment_fixed_size: 0
    .kernarg_segment_align: 8
    .kernarg_segment_size: 84
    .language:       OpenCL C
    .language_version:
      - 2
      - 0
    .max_flat_workgroup_size: 256
    .name:           _ZL19rocblas_axpy_kernelIlLi256EffPKfPfEviT2_lT3_lT_lT4_lS5_li
    .private_segment_fixed_size: 0
    .sgpr_count:     22
    .sgpr_spill_count: 0
    .symbol:         _ZL19rocblas_axpy_kernelIlLi256EffPKfPfEviT2_lT3_lT_lT4_lS5_li.kd
    .uniform_work_group_size: 1
    .uses_dynamic_stack: false
    .vgpr_count:     8
    .vgpr_spill_count: 0
    .wavefront_size: 32
    .workgroup_processor_mode: 1
  - .args:
      - .offset:         0
        .size:           4
        .value_kind:     by_value
      - .address_space:  global
        .offset:         8
        .size:           8
        .value_kind:     global_buffer
      - .offset:         16
        .size:           8
        .value_kind:     by_value
      - .address_space:  global
        .offset:         24
        .size:           8
        .value_kind:     global_buffer
      - .offset:         32
        .size:           8
        .value_kind:     by_value
      - .offset:         40
        .size:           8
        .value_kind:     by_value
      - .address_space:  global
        .offset:         48
        .size:           8
        .value_kind:     global_buffer
      - .offset:         56
        .size:           8
        .value_kind:     by_value
      - .offset:         64
        .size:           8
        .value_kind:     by_value
      - .offset:         72
        .size:           4
        .value_kind:     by_value
    .group_segment_fixed_size: 0
    .kernarg_segment_align: 8
    .kernarg_segment_size: 76
    .language:       OpenCL C
    .language_version:
      - 2
      - 0
    .max_flat_workgroup_size: 256
    .name:           _ZL26rocblas_haxpy_mlt_8_kernelILi256EPKDF16_PKdPdEviT0_lT1_llT2_lli
    .private_segment_fixed_size: 0
    .sgpr_count:     34
    .sgpr_spill_count: 0
    .symbol:         _ZL26rocblas_haxpy_mlt_8_kernelILi256EPKDF16_PKdPdEviT0_lT1_llT2_lli.kd
    .uniform_work_group_size: 1
    .uses_dynamic_stack: false
    .vgpr_count:     11
    .vgpr_spill_count: 0
    .wavefront_size: 32
    .workgroup_processor_mode: 1
  - .args:
      - .offset:         0
        .size:           4
        .value_kind:     by_value
      - .address_space:  global
        .offset:         8
        .size:           8
        .value_kind:     global_buffer
      - .offset:         16
        .size:           8
        .value_kind:     by_value
      - .address_space:  global
        .offset:         24
        .size:           8
        .value_kind:     global_buffer
      - .offset:         32
        .size:           8
        .value_kind:     by_value
      - .offset:         40
        .size:           8
        .value_kind:     by_value
      - .address_space:  global
        .offset:         48
        .size:           8
        .value_kind:     global_buffer
      - .offset:         56
        .size:           8
        .value_kind:     by_value
      - .offset:         64
        .size:           8
        .value_kind:     by_value
      - .offset:         72
        .size:           4
        .value_kind:     by_value
    .group_segment_fixed_size: 0
    .kernarg_segment_align: 8
    .kernarg_segment_size: 76
    .language:       OpenCL C
    .language_version:
      - 2
      - 0
    .max_flat_workgroup_size: 256
    .name:           _ZL26rocblas_haxpy_mod_8_kernelILi256EPKdS1_PdEviT0_lT1_llT2_lli
    .private_segment_fixed_size: 0
    .sgpr_count:     34
    .sgpr_spill_count: 0
    .symbol:         _ZL26rocblas_haxpy_mod_8_kernelILi256EPKdS1_PdEviT0_lT1_llT2_lli.kd
    .uniform_work_group_size: 1
    .uses_dynamic_stack: false
    .vgpr_count:     6
    .vgpr_spill_count: 0
    .wavefront_size: 32
    .workgroup_processor_mode: 1
  - .args:
      - .offset:         0
        .size:           4
        .value_kind:     by_value
      - .offset:         4
        .size:           2
        .value_kind:     by_value
      - .offset:         8
        .size:           8
        .value_kind:     by_value
      - .address_space:  global
        .offset:         16
        .size:           8
        .value_kind:     global_buffer
      - .offset:         24
        .size:           8
        .value_kind:     by_value
      - .offset:         32
        .size:           8
        .value_kind:     by_value
      - .address_space:  global
        .offset:         40
        .size:           8
        .value_kind:     global_buffer
      - .offset:         48
        .size:           8
        .value_kind:     by_value
      - .offset:         56
        .size:           8
        .value_kind:     by_value
      - .offset:         64
        .size:           4
        .value_kind:     by_value
    .group_segment_fixed_size: 0
    .kernarg_segment_align: 8
    .kernarg_segment_size: 68
    .language:       OpenCL C
    .language_version:
      - 2
      - 0
    .max_flat_workgroup_size: 256
    .name:           _ZL26rocblas_haxpy_mlt_8_kernelILi256EDF16_PKdPdEviT0_lT1_llT2_lli
    .private_segment_fixed_size: 0
    .sgpr_count:     22
    .sgpr_spill_count: 0
    .symbol:         _ZL26rocblas_haxpy_mlt_8_kernelILi256EDF16_PKdPdEviT0_lT1_llT2_lli.kd
    .uniform_work_group_size: 1
    .uses_dynamic_stack: false
    .vgpr_count:     10
    .vgpr_spill_count: 0
    .wavefront_size: 32
    .workgroup_processor_mode: 1
  - .args:
      - .offset:         0
        .size:           4
        .value_kind:     by_value
      - .offset:         8
        .size:           8
        .value_kind:     by_value
      - .offset:         16
        .size:           8
        .value_kind:     by_value
      - .address_space:  global
        .offset:         24
        .size:           8
        .value_kind:     global_buffer
      - .offset:         32
        .size:           8
        .value_kind:     by_value
      - .offset:         40
        .size:           8
        .value_kind:     by_value
      - .address_space:  global
        .offset:         48
        .size:           8
        .value_kind:     global_buffer
      - .offset:         56
        .size:           8
        .value_kind:     by_value
      - .offset:         64
        .size:           8
        .value_kind:     by_value
      - .offset:         72
        .size:           4
        .value_kind:     by_value
    .group_segment_fixed_size: 0
    .kernarg_segment_align: 8
    .kernarg_segment_size: 76
    .language:       OpenCL C
    .language_version:
      - 2
      - 0
    .max_flat_workgroup_size: 256
    .name:           _ZL26rocblas_haxpy_mod_8_kernelILi256EdPKdPdEviT0_lT1_llT2_lli
    .private_segment_fixed_size: 0
    .sgpr_count:     22
    .sgpr_spill_count: 0
    .symbol:         _ZL26rocblas_haxpy_mod_8_kernelILi256EdPKdPdEviT0_lT1_llT2_lli.kd
    .uniform_work_group_size: 1
    .uses_dynamic_stack: false
    .vgpr_count:     6
    .vgpr_spill_count: 0
    .wavefront_size: 32
    .workgroup_processor_mode: 1
  - .args:
      - .offset:         0
        .size:           4
        .value_kind:     by_value
      - .address_space:  global
        .offset:         8
        .size:           8
        .value_kind:     global_buffer
      - .offset:         16
        .size:           8
        .value_kind:     by_value
      - .actual_access:  read_only
        .address_space:  global
        .offset:         24
        .size:           8
        .value_kind:     global_buffer
      - .offset:         32
        .size:           8
        .value_kind:     by_value
      - .offset:         40
        .size:           8
        .value_kind:     by_value
      - .address_space:  global
        .offset:         48
        .size:           8
        .value_kind:     global_buffer
      - .offset:         56
        .size:           8
        .value_kind:     by_value
      - .offset:         64
        .size:           8
        .value_kind:     by_value
      - .offset:         72
        .size:           4
        .value_kind:     by_value
    .group_segment_fixed_size: 0
    .kernarg_segment_align: 8
    .kernarg_segment_size: 76
    .language:       OpenCL C
    .language_version:
      - 2
      - 0
    .max_flat_workgroup_size: 256
    .name:           _ZL22rocblas_saxpy_2_kernelILi256EdPKdS1_PdEviT1_lT2_llT3_lli
    .private_segment_fixed_size: 0
    .sgpr_count:     22
    .sgpr_spill_count: 0
    .symbol:         _ZL22rocblas_saxpy_2_kernelILi256EdPKdS1_PdEviT1_lT2_llT3_lli.kd
    .uniform_work_group_size: 1
    .uses_dynamic_stack: false
    .vgpr_count:     14
    .vgpr_spill_count: 0
    .wavefront_size: 32
    .workgroup_processor_mode: 1
  - .args:
      - .offset:         0
        .size:           4
        .value_kind:     by_value
      - .offset:         8
        .size:           8
        .value_kind:     by_value
      - .offset:         16
        .size:           8
        .value_kind:     by_value
      - .actual_access:  read_only
        .address_space:  global
        .offset:         24
        .size:           8
        .value_kind:     global_buffer
      - .offset:         32
        .size:           8
        .value_kind:     by_value
      - .offset:         40
        .size:           8
        .value_kind:     by_value
      - .address_space:  global
        .offset:         48
        .size:           8
        .value_kind:     global_buffer
      - .offset:         56
        .size:           8
        .value_kind:     by_value
      - .offset:         64
        .size:           8
        .value_kind:     by_value
      - .offset:         72
        .size:           4
        .value_kind:     by_value
    .group_segment_fixed_size: 0
    .kernarg_segment_align: 8
    .kernarg_segment_size: 76
    .language:       OpenCL C
    .language_version:
      - 2
      - 0
    .max_flat_workgroup_size: 256
    .name:           _ZL22rocblas_saxpy_2_kernelILi256EddPKdPdEviT1_lT2_llT3_lli
    .private_segment_fixed_size: 0
    .sgpr_count:     22
    .sgpr_spill_count: 0
    .symbol:         _ZL22rocblas_saxpy_2_kernelILi256EddPKdPdEviT1_lT2_llT3_lli.kd
    .uniform_work_group_size: 1
    .uses_dynamic_stack: false
    .vgpr_count:     14
    .vgpr_spill_count: 0
    .wavefront_size: 32
    .workgroup_processor_mode: 1
  - .args:
      - .offset:         0
        .size:           4
        .value_kind:     by_value
      - .address_space:  global
        .offset:         8
        .size:           8
        .value_kind:     global_buffer
      - .offset:         16
        .size:           8
        .value_kind:     by_value
      - .address_space:  global
        .offset:         24
        .size:           8
        .value_kind:     global_buffer
      - .offset:         32
        .size:           8
        .value_kind:     by_value
      - .offset:         40
        .size:           4
        .value_kind:     by_value
      - .offset:         48
        .size:           8
        .value_kind:     by_value
      - .address_space:  global
        .offset:         56
        .size:           8
        .value_kind:     global_buffer
      - .offset:         64
        .size:           8
        .value_kind:     by_value
      - .offset:         72
        .size:           4
        .value_kind:     by_value
      - .offset:         80
        .size:           8
        .value_kind:     by_value
      - .offset:         88
        .size:           4
        .value_kind:     by_value
    .group_segment_fixed_size: 0
    .kernarg_segment_align: 8
    .kernarg_segment_size: 92
    .language:       OpenCL C
    .language_version:
      - 2
      - 0
    .max_flat_workgroup_size: 1024
    .name:           _ZL27rocblas_axpy_kernel_batchedIiLi128ELi8EdPKdS1_PdEviT3_lT4_lT_lT5_lS5_li
    .private_segment_fixed_size: 0
    .sgpr_count:     22
    .sgpr_spill_count: 0
    .symbol:         _ZL27rocblas_axpy_kernel_batchedIiLi128ELi8EdPKdS1_PdEviT3_lT4_lT_lT5_lS5_li.kd
    .uniform_work_group_size: 1
    .uses_dynamic_stack: false
    .vgpr_count:     15
    .vgpr_spill_count: 0
    .wavefront_size: 32
    .workgroup_processor_mode: 1
  - .args:
      - .offset:         0
        .size:           4
        .value_kind:     by_value
      - .offset:         8
        .size:           8
        .value_kind:     by_value
      - .offset:         16
        .size:           8
        .value_kind:     by_value
      - .address_space:  global
        .offset:         24
        .size:           8
        .value_kind:     global_buffer
      - .offset:         32
        .size:           8
        .value_kind:     by_value
      - .offset:         40
        .size:           4
        .value_kind:     by_value
      - .offset:         48
        .size:           8
        .value_kind:     by_value
      - .address_space:  global
        .offset:         56
        .size:           8
        .value_kind:     global_buffer
      - .offset:         64
        .size:           8
        .value_kind:     by_value
      - .offset:         72
        .size:           4
        .value_kind:     by_value
      - .offset:         80
        .size:           8
        .value_kind:     by_value
      - .offset:         88
        .size:           4
        .value_kind:     by_value
    .group_segment_fixed_size: 0
    .kernarg_segment_align: 8
    .kernarg_segment_size: 92
    .language:       OpenCL C
    .language_version:
      - 2
      - 0
    .max_flat_workgroup_size: 1024
    .name:           _ZL27rocblas_axpy_kernel_batchedIiLi128ELi8EddPKdPdEviT3_lT4_lT_lT5_lS5_li
    .private_segment_fixed_size: 0
    .sgpr_count:     22
    .sgpr_spill_count: 0
    .symbol:         _ZL27rocblas_axpy_kernel_batchedIiLi128ELi8EddPKdPdEviT3_lT4_lT_lT5_lS5_li.kd
    .uniform_work_group_size: 1
    .uses_dynamic_stack: false
    .vgpr_count:     13
    .vgpr_spill_count: 0
    .wavefront_size: 32
    .workgroup_processor_mode: 1
  - .args:
      - .offset:         0
        .size:           4
        .value_kind:     by_value
      - .address_space:  global
        .offset:         8
        .size:           8
        .value_kind:     global_buffer
      - .offset:         16
        .size:           8
        .value_kind:     by_value
      - .actual_access:  read_only
        .address_space:  global
        .offset:         24
        .size:           8
        .value_kind:     global_buffer
      - .offset:         32
        .size:           8
        .value_kind:     by_value
      - .offset:         40
        .size:           4
        .value_kind:     by_value
      - .offset:         48
        .size:           8
        .value_kind:     by_value
      - .address_space:  global
        .offset:         56
        .size:           8
        .value_kind:     global_buffer
      - .offset:         64
        .size:           8
        .value_kind:     by_value
      - .offset:         72
        .size:           4
        .value_kind:     by_value
      - .offset:         80
        .size:           8
        .value_kind:     by_value
      - .offset:         88
        .size:           4
        .value_kind:     by_value
    .group_segment_fixed_size: 0
    .kernarg_segment_align: 8
    .kernarg_segment_size: 92
    .language:       OpenCL C
    .language_version:
      - 2
      - 0
    .max_flat_workgroup_size: 256
    .name:           _ZL19rocblas_axpy_kernelIiLi256EdPKdS1_PdEviT2_lT3_lT_lT4_lS5_li
    .private_segment_fixed_size: 0
    .sgpr_count:     21
    .sgpr_spill_count: 0
    .symbol:         _ZL19rocblas_axpy_kernelIiLi256EdPKdS1_PdEviT2_lT3_lT_lT4_lS5_li.kd
    .uniform_work_group_size: 1
    .uses_dynamic_stack: false
    .vgpr_count:     8
    .vgpr_spill_count: 0
    .wavefront_size: 32
    .workgroup_processor_mode: 1
  - .args:
      - .offset:         0
        .size:           4
        .value_kind:     by_value
      - .offset:         8
        .size:           8
        .value_kind:     by_value
      - .offset:         16
        .size:           8
        .value_kind:     by_value
      - .actual_access:  read_only
        .address_space:  global
        .offset:         24
        .size:           8
        .value_kind:     global_buffer
      - .offset:         32
        .size:           8
        .value_kind:     by_value
      - .offset:         40
        .size:           4
        .value_kind:     by_value
      - .offset:         48
        .size:           8
        .value_kind:     by_value
      - .address_space:  global
        .offset:         56
        .size:           8
        .value_kind:     global_buffer
      - .offset:         64
        .size:           8
        .value_kind:     by_value
      - .offset:         72
        .size:           4
        .value_kind:     by_value
      - .offset:         80
        .size:           8
        .value_kind:     by_value
      - .offset:         88
        .size:           4
        .value_kind:     by_value
    .group_segment_fixed_size: 0
    .kernarg_segment_align: 8
    .kernarg_segment_size: 92
    .language:       OpenCL C
    .language_version:
      - 2
      - 0
    .max_flat_workgroup_size: 256
    .name:           _ZL19rocblas_axpy_kernelIiLi256EddPKdPdEviT2_lT3_lT_lT4_lS5_li
    .private_segment_fixed_size: 0
    .sgpr_count:     21
    .sgpr_spill_count: 0
    .symbol:         _ZL19rocblas_axpy_kernelIiLi256EddPKdPdEviT2_lT3_lT_lT4_lS5_li.kd
    .uniform_work_group_size: 1
    .uses_dynamic_stack: false
    .vgpr_count:     8
    .vgpr_spill_count: 0
    .wavefront_size: 32
    .workgroup_processor_mode: 1
  - .args:
      - .offset:         0
        .size:           4
        .value_kind:     by_value
      - .address_space:  global
        .offset:         8
        .size:           8
        .value_kind:     global_buffer
      - .offset:         16
        .size:           8
        .value_kind:     by_value
      - .actual_access:  read_only
        .address_space:  global
        .offset:         24
        .size:           8
        .value_kind:     global_buffer
      - .offset:         32
        .size:           8
        .value_kind:     by_value
      - .offset:         40
        .size:           8
        .value_kind:     by_value
      - .offset:         48
        .size:           8
        .value_kind:     by_value
      - .address_space:  global
        .offset:         56
        .size:           8
        .value_kind:     global_buffer
      - .offset:         64
        .size:           8
        .value_kind:     by_value
      - .offset:         72
        .size:           8
        .value_kind:     by_value
      - .offset:         80
        .size:           8
        .value_kind:     by_value
      - .offset:         88
        .size:           4
        .value_kind:     by_value
    .group_segment_fixed_size: 0
    .kernarg_segment_align: 8
    .kernarg_segment_size: 92
    .language:       OpenCL C
    .language_version:
      - 2
      - 0
    .max_flat_workgroup_size: 256
    .name:           _ZL19rocblas_axpy_kernelIlLi256EdPKdS1_PdEviT2_lT3_lT_lT4_lS5_li
    .private_segment_fixed_size: 0
    .sgpr_count:     22
    .sgpr_spill_count: 0
    .symbol:         _ZL19rocblas_axpy_kernelIlLi256EdPKdS1_PdEviT2_lT3_lT_lT4_lS5_li.kd
    .uniform_work_group_size: 1
    .uses_dynamic_stack: false
    .vgpr_count:     8
    .vgpr_spill_count: 0
    .wavefront_size: 32
    .workgroup_processor_mode: 1
  - .args:
      - .offset:         0
        .size:           4
        .value_kind:     by_value
      - .offset:         8
        .size:           8
        .value_kind:     by_value
      - .offset:         16
        .size:           8
        .value_kind:     by_value
      - .actual_access:  read_only
        .address_space:  global
        .offset:         24
        .size:           8
        .value_kind:     global_buffer
      - .offset:         32
        .size:           8
        .value_kind:     by_value
      - .offset:         40
        .size:           8
        .value_kind:     by_value
      - .offset:         48
        .size:           8
        .value_kind:     by_value
      - .address_space:  global
        .offset:         56
        .size:           8
        .value_kind:     global_buffer
      - .offset:         64
        .size:           8
        .value_kind:     by_value
      - .offset:         72
        .size:           8
        .value_kind:     by_value
      - .offset:         80
        .size:           8
        .value_kind:     by_value
      - .offset:         88
        .size:           4
        .value_kind:     by_value
    .group_segment_fixed_size: 0
    .kernarg_segment_align: 8
    .kernarg_segment_size: 92
    .language:       OpenCL C
    .language_version:
      - 2
      - 0
    .max_flat_workgroup_size: 256
    .name:           _ZL19rocblas_axpy_kernelIlLi256EddPKdPdEviT2_lT3_lT_lT4_lS5_li
    .private_segment_fixed_size: 0
    .sgpr_count:     22
    .sgpr_spill_count: 0
    .symbol:         _ZL19rocblas_axpy_kernelIlLi256EddPKdPdEviT2_lT3_lT_lT4_lS5_li.kd
    .uniform_work_group_size: 1
    .uses_dynamic_stack: false
    .vgpr_count:     8
    .vgpr_spill_count: 0
    .wavefront_size: 32
    .workgroup_processor_mode: 1
  - .args:
      - .offset:         0
        .size:           4
        .value_kind:     by_value
      - .address_space:  global
        .offset:         8
        .size:           8
        .value_kind:     global_buffer
      - .offset:         16
        .size:           8
        .value_kind:     by_value
      - .address_space:  global
        .offset:         24
        .size:           8
        .value_kind:     global_buffer
      - .offset:         32
        .size:           8
        .value_kind:     by_value
      - .offset:         40
        .size:           8
        .value_kind:     by_value
      - .address_space:  global
        .offset:         48
        .size:           8
        .value_kind:     global_buffer
      - .offset:         56
        .size:           8
        .value_kind:     by_value
      - .offset:         64
        .size:           8
        .value_kind:     by_value
      - .offset:         72
        .size:           4
        .value_kind:     by_value
    .group_segment_fixed_size: 0
    .kernarg_segment_align: 8
    .kernarg_segment_size: 76
    .language:       OpenCL C
    .language_version:
      - 2
      - 0
    .max_flat_workgroup_size: 256
    .name:           _ZL26rocblas_haxpy_mlt_8_kernelILi256EPKDF16_PK19rocblas_complex_numIfEPS3_EviT0_lT1_llT2_lli
    .private_segment_fixed_size: 0
    .sgpr_count:     34
    .sgpr_spill_count: 0
    .symbol:         _ZL26rocblas_haxpy_mlt_8_kernelILi256EPKDF16_PK19rocblas_complex_numIfEPS3_EviT0_lT1_llT2_lli.kd
    .uniform_work_group_size: 1
    .uses_dynamic_stack: false
    .vgpr_count:     11
    .vgpr_spill_count: 0
    .wavefront_size: 32
    .workgroup_processor_mode: 1
  - .args:
      - .offset:         0
        .size:           4
        .value_kind:     by_value
      - .address_space:  global
        .offset:         8
        .size:           8
        .value_kind:     global_buffer
      - .offset:         16
        .size:           8
        .value_kind:     by_value
      - .address_space:  global
        .offset:         24
        .size:           8
        .value_kind:     global_buffer
      - .offset:         32
        .size:           8
        .value_kind:     by_value
      - .offset:         40
        .size:           8
        .value_kind:     by_value
      - .address_space:  global
        .offset:         48
        .size:           8
        .value_kind:     global_buffer
      - .offset:         56
        .size:           8
        .value_kind:     by_value
      - .offset:         64
        .size:           8
        .value_kind:     by_value
      - .offset:         72
        .size:           4
        .value_kind:     by_value
    .group_segment_fixed_size: 0
    .kernarg_segment_align: 8
    .kernarg_segment_size: 76
    .language:       OpenCL C
    .language_version:
      - 2
      - 0
    .max_flat_workgroup_size: 256
    .name:           _ZL26rocblas_haxpy_mod_8_kernelILi256EPK19rocblas_complex_numIfES3_PS1_EviT0_lT1_llT2_lli
    .private_segment_fixed_size: 0
    .sgpr_count:     34
    .sgpr_spill_count: 0
    .symbol:         _ZL26rocblas_haxpy_mod_8_kernelILi256EPK19rocblas_complex_numIfES3_PS1_EviT0_lT1_llT2_lli.kd
    .uniform_work_group_size: 1
    .uses_dynamic_stack: false
    .vgpr_count:     7
    .vgpr_spill_count: 0
    .wavefront_size: 32
    .workgroup_processor_mode: 1
  - .args:
      - .offset:         0
        .size:           4
        .value_kind:     by_value
      - .offset:         4
        .size:           2
        .value_kind:     by_value
      - .offset:         8
        .size:           8
        .value_kind:     by_value
      - .address_space:  global
        .offset:         16
        .size:           8
        .value_kind:     global_buffer
      - .offset:         24
        .size:           8
        .value_kind:     by_value
      - .offset:         32
        .size:           8
        .value_kind:     by_value
      - .address_space:  global
        .offset:         40
        .size:           8
        .value_kind:     global_buffer
      - .offset:         48
        .size:           8
        .value_kind:     by_value
      - .offset:         56
        .size:           8
        .value_kind:     by_value
      - .offset:         64
        .size:           4
        .value_kind:     by_value
    .group_segment_fixed_size: 0
    .kernarg_segment_align: 8
    .kernarg_segment_size: 68
    .language:       OpenCL C
    .language_version:
      - 2
      - 0
    .max_flat_workgroup_size: 256
    .name:           _ZL26rocblas_haxpy_mlt_8_kernelILi256EDF16_PK19rocblas_complex_numIfEPS1_EviT0_lT1_llT2_lli
    .private_segment_fixed_size: 0
    .sgpr_count:     22
    .sgpr_spill_count: 0
    .symbol:         _ZL26rocblas_haxpy_mlt_8_kernelILi256EDF16_PK19rocblas_complex_numIfEPS1_EviT0_lT1_llT2_lli.kd
    .uniform_work_group_size: 1
    .uses_dynamic_stack: false
    .vgpr_count:     10
    .vgpr_spill_count: 0
    .wavefront_size: 32
    .workgroup_processor_mode: 1
  - .args:
      - .offset:         0
        .size:           4
        .value_kind:     by_value
      - .offset:         4
        .size:           8
        .value_kind:     by_value
      - .offset:         16
        .size:           8
        .value_kind:     by_value
      - .address_space:  global
        .offset:         24
        .size:           8
        .value_kind:     global_buffer
      - .offset:         32
        .size:           8
        .value_kind:     by_value
      - .offset:         40
        .size:           8
        .value_kind:     by_value
      - .address_space:  global
        .offset:         48
        .size:           8
        .value_kind:     global_buffer
      - .offset:         56
        .size:           8
        .value_kind:     by_value
      - .offset:         64
        .size:           8
        .value_kind:     by_value
      - .offset:         72
        .size:           4
        .value_kind:     by_value
    .group_segment_fixed_size: 0
    .kernarg_segment_align: 8
    .kernarg_segment_size: 76
    .language:       OpenCL C
    .language_version:
      - 2
      - 0
    .max_flat_workgroup_size: 256
    .name:           _ZL26rocblas_haxpy_mod_8_kernelILi256E19rocblas_complex_numIfEPKS1_PS1_EviT0_lT1_llT2_lli
    .private_segment_fixed_size: 0
    .sgpr_count:     22
    .sgpr_spill_count: 0
    .symbol:         _ZL26rocblas_haxpy_mod_8_kernelILi256E19rocblas_complex_numIfEPKS1_PS1_EviT0_lT1_llT2_lli.kd
    .uniform_work_group_size: 1
    .uses_dynamic_stack: false
    .vgpr_count:     7
    .vgpr_spill_count: 0
    .wavefront_size: 32
    .workgroup_processor_mode: 1
  - .args:
      - .offset:         0
        .size:           4
        .value_kind:     by_value
      - .address_space:  global
        .offset:         8
        .size:           8
        .value_kind:     global_buffer
      - .offset:         16
        .size:           8
        .value_kind:     by_value
      - .actual_access:  read_only
        .address_space:  global
        .offset:         24
        .size:           8
        .value_kind:     global_buffer
      - .offset:         32
        .size:           8
        .value_kind:     by_value
      - .offset:         40
        .size:           8
        .value_kind:     by_value
      - .address_space:  global
        .offset:         48
        .size:           8
        .value_kind:     global_buffer
      - .offset:         56
        .size:           8
        .value_kind:     by_value
      - .offset:         64
        .size:           8
        .value_kind:     by_value
      - .offset:         72
        .size:           4
        .value_kind:     by_value
    .group_segment_fixed_size: 0
    .kernarg_segment_align: 8
    .kernarg_segment_size: 76
    .language:       OpenCL C
    .language_version:
      - 2
      - 0
    .max_flat_workgroup_size: 256
    .name:           _ZL22rocblas_saxpy_2_kernelILi256E19rocblas_complex_numIfEPKS1_S3_PS1_EviT1_lT2_llT3_lli
    .private_segment_fixed_size: 0
    .sgpr_count:     22
    .sgpr_spill_count: 0
    .symbol:         _ZL22rocblas_saxpy_2_kernelILi256E19rocblas_complex_numIfEPKS1_S3_PS1_EviT1_lT2_llT3_lli.kd
    .uniform_work_group_size: 1
    .uses_dynamic_stack: false
    .vgpr_count:     16
    .vgpr_spill_count: 0
    .wavefront_size: 32
    .workgroup_processor_mode: 1
  - .args:
      - .offset:         0
        .size:           4
        .value_kind:     by_value
      - .offset:         4
        .size:           8
        .value_kind:     by_value
      - .offset:         16
        .size:           8
        .value_kind:     by_value
      - .actual_access:  read_only
        .address_space:  global
        .offset:         24
        .size:           8
        .value_kind:     global_buffer
      - .offset:         32
        .size:           8
        .value_kind:     by_value
      - .offset:         40
        .size:           8
        .value_kind:     by_value
      - .address_space:  global
        .offset:         48
        .size:           8
        .value_kind:     global_buffer
      - .offset:         56
        .size:           8
        .value_kind:     by_value
      - .offset:         64
        .size:           8
        .value_kind:     by_value
      - .offset:         72
        .size:           4
        .value_kind:     by_value
    .group_segment_fixed_size: 0
    .kernarg_segment_align: 8
    .kernarg_segment_size: 76
    .language:       OpenCL C
    .language_version:
      - 2
      - 0
    .max_flat_workgroup_size: 256
    .name:           _ZL22rocblas_saxpy_2_kernelILi256E19rocblas_complex_numIfES1_PKS1_PS1_EviT1_lT2_llT3_lli
    .private_segment_fixed_size: 0
    .sgpr_count:     22
    .sgpr_spill_count: 0
    .symbol:         _ZL22rocblas_saxpy_2_kernelILi256E19rocblas_complex_numIfES1_PKS1_PS1_EviT1_lT2_llT3_lli.kd
    .uniform_work_group_size: 1
    .uses_dynamic_stack: false
    .vgpr_count:     16
    .vgpr_spill_count: 0
    .wavefront_size: 32
    .workgroup_processor_mode: 1
  - .args:
      - .offset:         0
        .size:           4
        .value_kind:     by_value
      - .address_space:  global
        .offset:         8
        .size:           8
        .value_kind:     global_buffer
      - .offset:         16
        .size:           8
        .value_kind:     by_value
      - .address_space:  global
        .offset:         24
        .size:           8
        .value_kind:     global_buffer
      - .offset:         32
        .size:           8
        .value_kind:     by_value
      - .offset:         40
        .size:           4
        .value_kind:     by_value
      - .offset:         48
        .size:           8
        .value_kind:     by_value
      - .address_space:  global
        .offset:         56
        .size:           8
        .value_kind:     global_buffer
      - .offset:         64
        .size:           8
        .value_kind:     by_value
      - .offset:         72
        .size:           4
        .value_kind:     by_value
      - .offset:         80
        .size:           8
        .value_kind:     by_value
      - .offset:         88
        .size:           4
        .value_kind:     by_value
    .group_segment_fixed_size: 0
    .kernarg_segment_align: 8
    .kernarg_segment_size: 92
    .language:       OpenCL C
    .language_version:
      - 2
      - 0
    .max_flat_workgroup_size: 1024
    .name:           _ZL27rocblas_axpy_kernel_batchedIiLi128ELi8E19rocblas_complex_numIfEPKS1_S3_PS1_EviT3_lT4_lT_lT5_lS7_li
    .private_segment_fixed_size: 0
    .sgpr_count:     22
    .sgpr_spill_count: 0
    .symbol:         _ZL27rocblas_axpy_kernel_batchedIiLi128ELi8E19rocblas_complex_numIfEPKS1_S3_PS1_EviT3_lT4_lT_lT5_lS7_li.kd
    .uniform_work_group_size: 1
    .uses_dynamic_stack: false
    .vgpr_count:     14
    .vgpr_spill_count: 0
    .wavefront_size: 32
    .workgroup_processor_mode: 1
  - .args:
      - .offset:         0
        .size:           4
        .value_kind:     by_value
      - .offset:         4
        .size:           8
        .value_kind:     by_value
      - .offset:         16
        .size:           8
        .value_kind:     by_value
      - .address_space:  global
        .offset:         24
        .size:           8
        .value_kind:     global_buffer
      - .offset:         32
        .size:           8
        .value_kind:     by_value
      - .offset:         40
        .size:           4
        .value_kind:     by_value
      - .offset:         48
        .size:           8
        .value_kind:     by_value
      - .address_space:  global
        .offset:         56
        .size:           8
        .value_kind:     global_buffer
      - .offset:         64
        .size:           8
        .value_kind:     by_value
      - .offset:         72
        .size:           4
        .value_kind:     by_value
      - .offset:         80
        .size:           8
        .value_kind:     by_value
      - .offset:         88
        .size:           4
        .value_kind:     by_value
    .group_segment_fixed_size: 0
    .kernarg_segment_align: 8
    .kernarg_segment_size: 92
    .language:       OpenCL C
    .language_version:
      - 2
      - 0
    .max_flat_workgroup_size: 1024
    .name:           _ZL27rocblas_axpy_kernel_batchedIiLi128ELi8E19rocblas_complex_numIfES1_PKS1_PS1_EviT3_lT4_lT_lT5_lS7_li
    .private_segment_fixed_size: 0
    .sgpr_count:     22
    .sgpr_spill_count: 0
    .symbol:         _ZL27rocblas_axpy_kernel_batchedIiLi128ELi8E19rocblas_complex_numIfES1_PKS1_PS1_EviT3_lT4_lT_lT5_lS7_li.kd
    .uniform_work_group_size: 1
    .uses_dynamic_stack: false
    .vgpr_count:     12
    .vgpr_spill_count: 0
    .wavefront_size: 32
    .workgroup_processor_mode: 1
  - .args:
      - .offset:         0
        .size:           4
        .value_kind:     by_value
      - .address_space:  global
        .offset:         8
        .size:           8
        .value_kind:     global_buffer
      - .offset:         16
        .size:           8
        .value_kind:     by_value
      - .actual_access:  read_only
        .address_space:  global
        .offset:         24
        .size:           8
        .value_kind:     global_buffer
      - .offset:         32
        .size:           8
        .value_kind:     by_value
      - .offset:         40
        .size:           4
        .value_kind:     by_value
      - .offset:         48
        .size:           8
        .value_kind:     by_value
      - .address_space:  global
        .offset:         56
        .size:           8
        .value_kind:     global_buffer
      - .offset:         64
        .size:           8
        .value_kind:     by_value
      - .offset:         72
        .size:           4
        .value_kind:     by_value
      - .offset:         80
        .size:           8
        .value_kind:     by_value
      - .offset:         88
        .size:           4
        .value_kind:     by_value
    .group_segment_fixed_size: 0
    .kernarg_segment_align: 8
    .kernarg_segment_size: 92
    .language:       OpenCL C
    .language_version:
      - 2
      - 0
    .max_flat_workgroup_size: 256
    .name:           _ZL19rocblas_axpy_kernelIiLi256E19rocblas_complex_numIfEPKS1_S3_PS1_EviT2_lT3_lT_lT4_lS7_li
    .private_segment_fixed_size: 0
    .sgpr_count:     21
    .sgpr_spill_count: 0
    .symbol:         _ZL19rocblas_axpy_kernelIiLi256E19rocblas_complex_numIfEPKS1_S3_PS1_EviT2_lT3_lT_lT4_lS7_li.kd
    .uniform_work_group_size: 1
    .uses_dynamic_stack: false
    .vgpr_count:     7
    .vgpr_spill_count: 0
    .wavefront_size: 32
    .workgroup_processor_mode: 1
  - .args:
      - .offset:         0
        .size:           4
        .value_kind:     by_value
      - .offset:         4
        .size:           8
        .value_kind:     by_value
      - .offset:         16
        .size:           8
        .value_kind:     by_value
      - .actual_access:  read_only
        .address_space:  global
        .offset:         24
        .size:           8
        .value_kind:     global_buffer
      - .offset:         32
        .size:           8
        .value_kind:     by_value
      - .offset:         40
        .size:           4
        .value_kind:     by_value
      - .offset:         48
        .size:           8
        .value_kind:     by_value
      - .address_space:  global
        .offset:         56
        .size:           8
        .value_kind:     global_buffer
      - .offset:         64
        .size:           8
        .value_kind:     by_value
      - .offset:         72
        .size:           4
        .value_kind:     by_value
      - .offset:         80
        .size:           8
        .value_kind:     by_value
      - .offset:         88
        .size:           4
        .value_kind:     by_value
    .group_segment_fixed_size: 0
    .kernarg_segment_align: 8
    .kernarg_segment_size: 92
    .language:       OpenCL C
    .language_version:
      - 2
      - 0
    .max_flat_workgroup_size: 256
    .name:           _ZL19rocblas_axpy_kernelIiLi256E19rocblas_complex_numIfES1_PKS1_PS1_EviT2_lT3_lT_lT4_lS7_li
    .private_segment_fixed_size: 0
    .sgpr_count:     22
    .sgpr_spill_count: 0
    .symbol:         _ZL19rocblas_axpy_kernelIiLi256E19rocblas_complex_numIfES1_PKS1_PS1_EviT2_lT3_lT_lT4_lS7_li.kd
    .uniform_work_group_size: 1
    .uses_dynamic_stack: false
    .vgpr_count:     7
    .vgpr_spill_count: 0
    .wavefront_size: 32
    .workgroup_processor_mode: 1
  - .args:
      - .offset:         0
        .size:           4
        .value_kind:     by_value
      - .address_space:  global
        .offset:         8
        .size:           8
        .value_kind:     global_buffer
      - .offset:         16
        .size:           8
        .value_kind:     by_value
      - .actual_access:  read_only
        .address_space:  global
        .offset:         24
        .size:           8
        .value_kind:     global_buffer
      - .offset:         32
        .size:           8
        .value_kind:     by_value
      - .offset:         40
        .size:           8
        .value_kind:     by_value
      - .offset:         48
        .size:           8
        .value_kind:     by_value
      - .address_space:  global
        .offset:         56
        .size:           8
        .value_kind:     global_buffer
      - .offset:         64
        .size:           8
        .value_kind:     by_value
      - .offset:         72
        .size:           8
        .value_kind:     by_value
      - .offset:         80
        .size:           8
        .value_kind:     by_value
      - .offset:         88
        .size:           4
        .value_kind:     by_value
    .group_segment_fixed_size: 0
    .kernarg_segment_align: 8
    .kernarg_segment_size: 92
    .language:       OpenCL C
    .language_version:
      - 2
      - 0
    .max_flat_workgroup_size: 256
    .name:           _ZL19rocblas_axpy_kernelIlLi256E19rocblas_complex_numIfEPKS1_S3_PS1_EviT2_lT3_lT_lT4_lS7_li
    .private_segment_fixed_size: 0
    .sgpr_count:     22
    .sgpr_spill_count: 0
    .symbol:         _ZL19rocblas_axpy_kernelIlLi256E19rocblas_complex_numIfEPKS1_S3_PS1_EviT2_lT3_lT_lT4_lS7_li.kd
    .uniform_work_group_size: 1
    .uses_dynamic_stack: false
    .vgpr_count:     7
    .vgpr_spill_count: 0
    .wavefront_size: 32
    .workgroup_processor_mode: 1
  - .args:
      - .offset:         0
        .size:           4
        .value_kind:     by_value
      - .offset:         4
        .size:           8
        .value_kind:     by_value
      - .offset:         16
        .size:           8
        .value_kind:     by_value
      - .actual_access:  read_only
        .address_space:  global
        .offset:         24
        .size:           8
        .value_kind:     global_buffer
      - .offset:         32
        .size:           8
        .value_kind:     by_value
      - .offset:         40
        .size:           8
        .value_kind:     by_value
      - .offset:         48
        .size:           8
        .value_kind:     by_value
      - .address_space:  global
        .offset:         56
        .size:           8
        .value_kind:     global_buffer
      - .offset:         64
        .size:           8
        .value_kind:     by_value
      - .offset:         72
        .size:           8
        .value_kind:     by_value
      - .offset:         80
        .size:           8
        .value_kind:     by_value
      - .offset:         88
        .size:           4
        .value_kind:     by_value
    .group_segment_fixed_size: 0
    .kernarg_segment_align: 8
    .kernarg_segment_size: 92
    .language:       OpenCL C
    .language_version:
      - 2
      - 0
    .max_flat_workgroup_size: 256
    .name:           _ZL19rocblas_axpy_kernelIlLi256E19rocblas_complex_numIfES1_PKS1_PS1_EviT2_lT3_lT_lT4_lS7_li
    .private_segment_fixed_size: 0
    .sgpr_count:     26
    .sgpr_spill_count: 0
    .symbol:         _ZL19rocblas_axpy_kernelIlLi256E19rocblas_complex_numIfES1_PKS1_PS1_EviT2_lT3_lT_lT4_lS7_li.kd
    .uniform_work_group_size: 1
    .uses_dynamic_stack: false
    .vgpr_count:     7
    .vgpr_spill_count: 0
    .wavefront_size: 32
    .workgroup_processor_mode: 1
  - .args:
      - .offset:         0
        .size:           4
        .value_kind:     by_value
      - .address_space:  global
        .offset:         8
        .size:           8
        .value_kind:     global_buffer
      - .offset:         16
        .size:           8
        .value_kind:     by_value
      - .address_space:  global
        .offset:         24
        .size:           8
        .value_kind:     global_buffer
      - .offset:         32
        .size:           8
        .value_kind:     by_value
      - .offset:         40
        .size:           8
        .value_kind:     by_value
      - .address_space:  global
        .offset:         48
        .size:           8
        .value_kind:     global_buffer
      - .offset:         56
        .size:           8
        .value_kind:     by_value
      - .offset:         64
        .size:           8
        .value_kind:     by_value
      - .offset:         72
        .size:           4
        .value_kind:     by_value
    .group_segment_fixed_size: 0
    .kernarg_segment_align: 8
    .kernarg_segment_size: 76
    .language:       OpenCL C
    .language_version:
      - 2
      - 0
    .max_flat_workgroup_size: 256
    .name:           _ZL26rocblas_haxpy_mlt_8_kernelILi256EPKDF16_PK19rocblas_complex_numIdEPS3_EviT0_lT1_llT2_lli
    .private_segment_fixed_size: 0
    .sgpr_count:     34
    .sgpr_spill_count: 0
    .symbol:         _ZL26rocblas_haxpy_mlt_8_kernelILi256EPKDF16_PK19rocblas_complex_numIdEPS3_EviT0_lT1_llT2_lli.kd
    .uniform_work_group_size: 1
    .uses_dynamic_stack: false
    .vgpr_count:     11
    .vgpr_spill_count: 0
    .wavefront_size: 32
    .workgroup_processor_mode: 1
  - .args:
      - .offset:         0
        .size:           4
        .value_kind:     by_value
      - .address_space:  global
        .offset:         8
        .size:           8
        .value_kind:     global_buffer
      - .offset:         16
        .size:           8
        .value_kind:     by_value
      - .address_space:  global
        .offset:         24
        .size:           8
        .value_kind:     global_buffer
      - .offset:         32
        .size:           8
        .value_kind:     by_value
      - .offset:         40
        .size:           8
        .value_kind:     by_value
      - .address_space:  global
        .offset:         48
        .size:           8
        .value_kind:     global_buffer
      - .offset:         56
        .size:           8
        .value_kind:     by_value
      - .offset:         64
        .size:           8
        .value_kind:     by_value
      - .offset:         72
        .size:           4
        .value_kind:     by_value
    .group_segment_fixed_size: 0
    .kernarg_segment_align: 8
    .kernarg_segment_size: 76
    .language:       OpenCL C
    .language_version:
      - 2
      - 0
    .max_flat_workgroup_size: 256
    .name:           _ZL26rocblas_haxpy_mod_8_kernelILi256EPK19rocblas_complex_numIdES3_PS1_EviT0_lT1_llT2_lli
    .private_segment_fixed_size: 0
    .sgpr_count:     34
    .sgpr_spill_count: 0
    .symbol:         _ZL26rocblas_haxpy_mod_8_kernelILi256EPK19rocblas_complex_numIdES3_PS1_EviT0_lT1_llT2_lli.kd
    .uniform_work_group_size: 1
    .uses_dynamic_stack: false
    .vgpr_count:     12
    .vgpr_spill_count: 0
    .wavefront_size: 32
    .workgroup_processor_mode: 1
  - .args:
      - .offset:         0
        .size:           4
        .value_kind:     by_value
      - .offset:         4
        .size:           2
        .value_kind:     by_value
      - .offset:         8
        .size:           8
        .value_kind:     by_value
      - .address_space:  global
        .offset:         16
        .size:           8
        .value_kind:     global_buffer
      - .offset:         24
        .size:           8
        .value_kind:     by_value
      - .offset:         32
        .size:           8
        .value_kind:     by_value
      - .address_space:  global
        .offset:         40
        .size:           8
        .value_kind:     global_buffer
      - .offset:         48
        .size:           8
        .value_kind:     by_value
      - .offset:         56
        .size:           8
        .value_kind:     by_value
      - .offset:         64
        .size:           4
        .value_kind:     by_value
    .group_segment_fixed_size: 0
    .kernarg_segment_align: 8
    .kernarg_segment_size: 68
    .language:       OpenCL C
    .language_version:
      - 2
      - 0
    .max_flat_workgroup_size: 256
    .name:           _ZL26rocblas_haxpy_mlt_8_kernelILi256EDF16_PK19rocblas_complex_numIdEPS1_EviT0_lT1_llT2_lli
    .private_segment_fixed_size: 0
    .sgpr_count:     22
    .sgpr_spill_count: 0
    .symbol:         _ZL26rocblas_haxpy_mlt_8_kernelILi256EDF16_PK19rocblas_complex_numIdEPS1_EviT0_lT1_llT2_lli.kd
    .uniform_work_group_size: 1
    .uses_dynamic_stack: false
    .vgpr_count:     10
    .vgpr_spill_count: 0
    .wavefront_size: 32
    .workgroup_processor_mode: 1
  - .args:
      - .offset:         0
        .size:           4
        .value_kind:     by_value
      - .offset:         8
        .size:           16
        .value_kind:     by_value
      - .offset:         24
        .size:           8
        .value_kind:     by_value
      - .address_space:  global
        .offset:         32
        .size:           8
        .value_kind:     global_buffer
      - .offset:         40
        .size:           8
        .value_kind:     by_value
      - .offset:         48
        .size:           8
        .value_kind:     by_value
      - .address_space:  global
        .offset:         56
        .size:           8
        .value_kind:     global_buffer
      - .offset:         64
        .size:           8
        .value_kind:     by_value
      - .offset:         72
        .size:           8
        .value_kind:     by_value
      - .offset:         80
        .size:           4
        .value_kind:     by_value
    .group_segment_fixed_size: 0
    .kernarg_segment_align: 8
    .kernarg_segment_size: 84
    .language:       OpenCL C
    .language_version:
      - 2
      - 0
    .max_flat_workgroup_size: 256
    .name:           _ZL26rocblas_haxpy_mod_8_kernelILi256E19rocblas_complex_numIdEPKS1_PS1_EviT0_lT1_llT2_lli
    .private_segment_fixed_size: 0
    .sgpr_count:     22
    .sgpr_spill_count: 0
    .symbol:         _ZL26rocblas_haxpy_mod_8_kernelILi256E19rocblas_complex_numIdEPKS1_PS1_EviT0_lT1_llT2_lli.kd
    .uniform_work_group_size: 1
    .uses_dynamic_stack: false
    .vgpr_count:     12
    .vgpr_spill_count: 0
    .wavefront_size: 32
    .workgroup_processor_mode: 1
  - .args:
      - .offset:         0
        .size:           4
        .value_kind:     by_value
      - .address_space:  global
        .offset:         8
        .size:           8
        .value_kind:     global_buffer
      - .offset:         16
        .size:           8
        .value_kind:     by_value
      - .actual_access:  read_only
        .address_space:  global
        .offset:         24
        .size:           8
        .value_kind:     global_buffer
      - .offset:         32
        .size:           8
        .value_kind:     by_value
      - .offset:         40
        .size:           8
        .value_kind:     by_value
      - .address_space:  global
        .offset:         48
        .size:           8
        .value_kind:     global_buffer
      - .offset:         56
        .size:           8
        .value_kind:     by_value
      - .offset:         64
        .size:           8
        .value_kind:     by_value
      - .offset:         72
        .size:           4
        .value_kind:     by_value
    .group_segment_fixed_size: 0
    .kernarg_segment_align: 8
    .kernarg_segment_size: 76
    .language:       OpenCL C
    .language_version:
      - 2
      - 0
    .max_flat_workgroup_size: 256
    .name:           _ZL22rocblas_saxpy_2_kernelILi256E19rocblas_complex_numIdEPKS1_S3_PS1_EviT1_lT2_llT3_lli
    .private_segment_fixed_size: 0
    .sgpr_count:     24
    .sgpr_spill_count: 0
    .symbol:         _ZL22rocblas_saxpy_2_kernelILi256E19rocblas_complex_numIdEPKS1_S3_PS1_EviT1_lT2_llT3_lli.kd
    .uniform_work_group_size: 1
    .uses_dynamic_stack: false
    .vgpr_count:     26
    .vgpr_spill_count: 0
    .wavefront_size: 32
    .workgroup_processor_mode: 1
  - .args:
      - .offset:         0
        .size:           4
        .value_kind:     by_value
      - .offset:         8
        .size:           16
        .value_kind:     by_value
      - .offset:         24
        .size:           8
        .value_kind:     by_value
      - .actual_access:  read_only
        .address_space:  global
        .offset:         32
        .size:           8
        .value_kind:     global_buffer
      - .offset:         40
        .size:           8
        .value_kind:     by_value
      - .offset:         48
        .size:           8
        .value_kind:     by_value
      - .address_space:  global
        .offset:         56
        .size:           8
        .value_kind:     global_buffer
      - .offset:         64
        .size:           8
        .value_kind:     by_value
      - .offset:         72
        .size:           8
        .value_kind:     by_value
      - .offset:         80
        .size:           4
        .value_kind:     by_value
    .group_segment_fixed_size: 0
    .kernarg_segment_align: 8
    .kernarg_segment_size: 84
    .language:       OpenCL C
    .language_version:
      - 2
      - 0
    .max_flat_workgroup_size: 256
    .name:           _ZL22rocblas_saxpy_2_kernelILi256E19rocblas_complex_numIdES1_PKS1_PS1_EviT1_lT2_llT3_lli
    .private_segment_fixed_size: 0
    .sgpr_count:     24
    .sgpr_spill_count: 0
    .symbol:         _ZL22rocblas_saxpy_2_kernelILi256E19rocblas_complex_numIdES1_PKS1_PS1_EviT1_lT2_llT3_lli.kd
    .uniform_work_group_size: 1
    .uses_dynamic_stack: false
    .vgpr_count:     26
    .vgpr_spill_count: 0
    .wavefront_size: 32
    .workgroup_processor_mode: 1
  - .args:
      - .offset:         0
        .size:           4
        .value_kind:     by_value
      - .address_space:  global
        .offset:         8
        .size:           8
        .value_kind:     global_buffer
      - .offset:         16
        .size:           8
        .value_kind:     by_value
      - .address_space:  global
        .offset:         24
        .size:           8
        .value_kind:     global_buffer
      - .offset:         32
        .size:           8
        .value_kind:     by_value
      - .offset:         40
        .size:           4
        .value_kind:     by_value
      - .offset:         48
        .size:           8
        .value_kind:     by_value
      - .address_space:  global
        .offset:         56
        .size:           8
        .value_kind:     global_buffer
      - .offset:         64
        .size:           8
        .value_kind:     by_value
      - .offset:         72
        .size:           4
        .value_kind:     by_value
      - .offset:         80
        .size:           8
        .value_kind:     by_value
      - .offset:         88
        .size:           4
        .value_kind:     by_value
    .group_segment_fixed_size: 0
    .kernarg_segment_align: 8
    .kernarg_segment_size: 92
    .language:       OpenCL C
    .language_version:
      - 2
      - 0
    .max_flat_workgroup_size: 1024
    .name:           _ZL27rocblas_axpy_kernel_batchedIiLi128ELi8E19rocblas_complex_numIdEPKS1_S3_PS1_EviT3_lT4_lT_lT5_lS7_li
    .private_segment_fixed_size: 0
    .sgpr_count:     22
    .sgpr_spill_count: 0
    .symbol:         _ZL27rocblas_axpy_kernel_batchedIiLi128ELi8E19rocblas_complex_numIdEPKS1_S3_PS1_EviT3_lT4_lT_lT5_lS7_li.kd
    .uniform_work_group_size: 1
    .uses_dynamic_stack: false
    .vgpr_count:     22
    .vgpr_spill_count: 0
    .wavefront_size: 32
    .workgroup_processor_mode: 1
  - .args:
      - .offset:         0
        .size:           4
        .value_kind:     by_value
      - .offset:         8
        .size:           16
        .value_kind:     by_value
      - .offset:         24
        .size:           8
        .value_kind:     by_value
      - .address_space:  global
        .offset:         32
        .size:           8
        .value_kind:     global_buffer
      - .offset:         40
        .size:           8
        .value_kind:     by_value
      - .offset:         48
        .size:           4
        .value_kind:     by_value
      - .offset:         56
        .size:           8
        .value_kind:     by_value
      - .address_space:  global
        .offset:         64
        .size:           8
        .value_kind:     global_buffer
      - .offset:         72
        .size:           8
        .value_kind:     by_value
      - .offset:         80
        .size:           4
        .value_kind:     by_value
      - .offset:         88
        .size:           8
        .value_kind:     by_value
      - .offset:         96
        .size:           4
        .value_kind:     by_value
    .group_segment_fixed_size: 0
    .kernarg_segment_align: 8
    .kernarg_segment_size: 100
    .language:       OpenCL C
    .language_version:
      - 2
      - 0
    .max_flat_workgroup_size: 1024
    .name:           _ZL27rocblas_axpy_kernel_batchedIiLi128ELi8E19rocblas_complex_numIdES1_PKS1_PS1_EviT3_lT4_lT_lT5_lS7_li
    .private_segment_fixed_size: 0
    .sgpr_count:     24
    .sgpr_spill_count: 0
    .symbol:         _ZL27rocblas_axpy_kernel_batchedIiLi128ELi8E19rocblas_complex_numIdES1_PKS1_PS1_EviT3_lT4_lT_lT5_lS7_li.kd
    .uniform_work_group_size: 1
    .uses_dynamic_stack: false
    .vgpr_count:     18
    .vgpr_spill_count: 0
    .wavefront_size: 32
    .workgroup_processor_mode: 1
  - .args:
      - .offset:         0
        .size:           4
        .value_kind:     by_value
      - .address_space:  global
        .offset:         8
        .size:           8
        .value_kind:     global_buffer
      - .offset:         16
        .size:           8
        .value_kind:     by_value
      - .actual_access:  read_only
        .address_space:  global
        .offset:         24
        .size:           8
        .value_kind:     global_buffer
      - .offset:         32
        .size:           8
        .value_kind:     by_value
      - .offset:         40
        .size:           4
        .value_kind:     by_value
      - .offset:         48
        .size:           8
        .value_kind:     by_value
      - .address_space:  global
        .offset:         56
        .size:           8
        .value_kind:     global_buffer
      - .offset:         64
        .size:           8
        .value_kind:     by_value
      - .offset:         72
        .size:           4
        .value_kind:     by_value
      - .offset:         80
        .size:           8
        .value_kind:     by_value
      - .offset:         88
        .size:           4
        .value_kind:     by_value
    .group_segment_fixed_size: 0
    .kernarg_segment_align: 8
    .kernarg_segment_size: 92
    .language:       OpenCL C
    .language_version:
      - 2
      - 0
    .max_flat_workgroup_size: 256
    .name:           _ZL19rocblas_axpy_kernelIiLi256E19rocblas_complex_numIdEPKS1_S3_PS1_EviT2_lT3_lT_lT4_lS7_li
    .private_segment_fixed_size: 0
    .sgpr_count:     22
    .sgpr_spill_count: 0
    .symbol:         _ZL19rocblas_axpy_kernelIiLi256E19rocblas_complex_numIdEPKS1_S3_PS1_EviT2_lT3_lT_lT4_lS7_li.kd
    .uniform_work_group_size: 1
    .uses_dynamic_stack: false
    .vgpr_count:     13
    .vgpr_spill_count: 0
    .wavefront_size: 32
    .workgroup_processor_mode: 1
  - .args:
      - .offset:         0
        .size:           4
        .value_kind:     by_value
      - .offset:         8
        .size:           16
        .value_kind:     by_value
      - .offset:         24
        .size:           8
        .value_kind:     by_value
      - .actual_access:  read_only
        .address_space:  global
        .offset:         32
        .size:           8
        .value_kind:     global_buffer
      - .offset:         40
        .size:           8
        .value_kind:     by_value
      - .offset:         48
        .size:           4
        .value_kind:     by_value
      - .offset:         56
        .size:           8
        .value_kind:     by_value
      - .address_space:  global
        .offset:         64
        .size:           8
        .value_kind:     global_buffer
      - .offset:         72
        .size:           8
        .value_kind:     by_value
      - .offset:         80
        .size:           4
        .value_kind:     by_value
      - .offset:         88
        .size:           8
        .value_kind:     by_value
      - .offset:         96
        .size:           4
        .value_kind:     by_value
    .group_segment_fixed_size: 0
    .kernarg_segment_align: 8
    .kernarg_segment_size: 100
    .language:       OpenCL C
    .language_version:
      - 2
      - 0
    .max_flat_workgroup_size: 256
    .name:           _ZL19rocblas_axpy_kernelIiLi256E19rocblas_complex_numIdES1_PKS1_PS1_EviT2_lT3_lT_lT4_lS7_li
    .private_segment_fixed_size: 0
    .sgpr_count:     22
    .sgpr_spill_count: 0
    .symbol:         _ZL19rocblas_axpy_kernelIiLi256E19rocblas_complex_numIdES1_PKS1_PS1_EviT2_lT3_lT_lT4_lS7_li.kd
    .uniform_work_group_size: 1
    .uses_dynamic_stack: false
    .vgpr_count:     13
    .vgpr_spill_count: 0
    .wavefront_size: 32
    .workgroup_processor_mode: 1
  - .args:
      - .offset:         0
        .size:           4
        .value_kind:     by_value
      - .address_space:  global
        .offset:         8
        .size:           8
        .value_kind:     global_buffer
      - .offset:         16
        .size:           8
        .value_kind:     by_value
      - .actual_access:  read_only
        .address_space:  global
        .offset:         24
        .size:           8
        .value_kind:     global_buffer
      - .offset:         32
        .size:           8
        .value_kind:     by_value
      - .offset:         40
        .size:           8
        .value_kind:     by_value
      - .offset:         48
        .size:           8
        .value_kind:     by_value
      - .address_space:  global
        .offset:         56
        .size:           8
        .value_kind:     global_buffer
      - .offset:         64
        .size:           8
        .value_kind:     by_value
      - .offset:         72
        .size:           8
        .value_kind:     by_value
      - .offset:         80
        .size:           8
        .value_kind:     by_value
      - .offset:         88
        .size:           4
        .value_kind:     by_value
    .group_segment_fixed_size: 0
    .kernarg_segment_align: 8
    .kernarg_segment_size: 92
    .language:       OpenCL C
    .language_version:
      - 2
      - 0
    .max_flat_workgroup_size: 256
    .name:           _ZL19rocblas_axpy_kernelIlLi256E19rocblas_complex_numIdEPKS1_S3_PS1_EviT2_lT3_lT_lT4_lS7_li
    .private_segment_fixed_size: 0
    .sgpr_count:     26
    .sgpr_spill_count: 0
    .symbol:         _ZL19rocblas_axpy_kernelIlLi256E19rocblas_complex_numIdEPKS1_S3_PS1_EviT2_lT3_lT_lT4_lS7_li.kd
    .uniform_work_group_size: 1
    .uses_dynamic_stack: false
    .vgpr_count:     13
    .vgpr_spill_count: 0
    .wavefront_size: 32
    .workgroup_processor_mode: 1
  - .args:
      - .offset:         0
        .size:           4
        .value_kind:     by_value
      - .offset:         8
        .size:           16
        .value_kind:     by_value
      - .offset:         24
        .size:           8
        .value_kind:     by_value
      - .actual_access:  read_only
        .address_space:  global
        .offset:         32
        .size:           8
        .value_kind:     global_buffer
      - .offset:         40
        .size:           8
        .value_kind:     by_value
      - .offset:         48
        .size:           8
        .value_kind:     by_value
      - .offset:         56
        .size:           8
        .value_kind:     by_value
      - .address_space:  global
        .offset:         64
        .size:           8
        .value_kind:     global_buffer
      - .offset:         72
        .size:           8
        .value_kind:     by_value
      - .offset:         80
        .size:           8
        .value_kind:     by_value
      - .offset:         88
        .size:           8
        .value_kind:     by_value
      - .offset:         96
        .size:           4
        .value_kind:     by_value
    .group_segment_fixed_size: 0
    .kernarg_segment_align: 8
    .kernarg_segment_size: 100
    .language:       OpenCL C
    .language_version:
      - 2
      - 0
    .max_flat_workgroup_size: 256
    .name:           _ZL19rocblas_axpy_kernelIlLi256E19rocblas_complex_numIdES1_PKS1_PS1_EviT2_lT3_lT_lT4_lS7_li
    .private_segment_fixed_size: 0
    .sgpr_count:     26
    .sgpr_spill_count: 0
    .symbol:         _ZL19rocblas_axpy_kernelIlLi256E19rocblas_complex_numIdES1_PKS1_PS1_EviT2_lT3_lT_lT4_lS7_li.kd
    .uniform_work_group_size: 1
    .uses_dynamic_stack: false
    .vgpr_count:     13
    .vgpr_spill_count: 0
    .wavefront_size: 32
    .workgroup_processor_mode: 1
  - .args:
      - .offset:         0
        .size:           4
        .value_kind:     by_value
      - .address_space:  global
        .offset:         8
        .size:           8
        .value_kind:     global_buffer
      - .offset:         16
        .size:           8
        .value_kind:     by_value
      - .address_space:  global
        .offset:         24
        .size:           8
        .value_kind:     global_buffer
      - .offset:         32
        .size:           8
        .value_kind:     by_value
      - .offset:         40
        .size:           8
        .value_kind:     by_value
      - .address_space:  global
        .offset:         48
        .size:           8
        .value_kind:     global_buffer
      - .offset:         56
        .size:           8
        .value_kind:     by_value
      - .offset:         64
        .size:           8
        .value_kind:     by_value
      - .offset:         72
        .size:           4
        .value_kind:     by_value
    .group_segment_fixed_size: 0
    .kernarg_segment_align: 8
    .kernarg_segment_size: 76
    .language:       OpenCL C
    .language_version:
      - 2
      - 0
    .max_flat_workgroup_size: 256
    .name:           _ZL26rocblas_haxpy_mlt_8_kernelILi256EPKDF16_PKS1_PKPDF16_EviT0_lT1_llT2_lli
    .private_segment_fixed_size: 0
    .sgpr_count:     18
    .sgpr_spill_count: 0
    .symbol:         _ZL26rocblas_haxpy_mlt_8_kernelILi256EPKDF16_PKS1_PKPDF16_EviT0_lT1_llT2_lli.kd
    .uniform_work_group_size: 1
    .uses_dynamic_stack: false
    .vgpr_count:     11
    .vgpr_spill_count: 0
    .wavefront_size: 32
    .workgroup_processor_mode: 1
  - .args:
      - .offset:         0
        .size:           4
        .value_kind:     by_value
      - .address_space:  global
        .offset:         8
        .size:           8
        .value_kind:     global_buffer
      - .offset:         16
        .size:           8
        .value_kind:     by_value
      - .address_space:  global
        .offset:         24
        .size:           8
        .value_kind:     global_buffer
      - .offset:         32
        .size:           8
        .value_kind:     by_value
      - .offset:         40
        .size:           8
        .value_kind:     by_value
      - .address_space:  global
        .offset:         48
        .size:           8
        .value_kind:     global_buffer
      - .offset:         56
        .size:           8
        .value_kind:     by_value
      - .offset:         64
        .size:           8
        .value_kind:     by_value
      - .offset:         72
        .size:           4
        .value_kind:     by_value
    .group_segment_fixed_size: 0
    .kernarg_segment_align: 8
    .kernarg_segment_size: 76
    .language:       OpenCL C
    .language_version:
      - 2
      - 0
    .max_flat_workgroup_size: 256
    .name:           _ZL26rocblas_haxpy_mod_8_kernelILi256EPKDF16_PKS1_PKPDF16_EviT0_lT1_llT2_lli
    .private_segment_fixed_size: 0
    .sgpr_count:     18
    .sgpr_spill_count: 0
    .symbol:         _ZL26rocblas_haxpy_mod_8_kernelILi256EPKDF16_PKS1_PKPDF16_EviT0_lT1_llT2_lli.kd
    .uniform_work_group_size: 1
    .uses_dynamic_stack: false
    .vgpr_count:     5
    .vgpr_spill_count: 0
    .wavefront_size: 32
    .workgroup_processor_mode: 1
  - .args:
      - .offset:         0
        .size:           4
        .value_kind:     by_value
      - .offset:         4
        .size:           2
        .value_kind:     by_value
      - .offset:         8
        .size:           8
        .value_kind:     by_value
      - .address_space:  global
        .offset:         16
        .size:           8
        .value_kind:     global_buffer
      - .offset:         24
        .size:           8
        .value_kind:     by_value
      - .offset:         32
        .size:           8
        .value_kind:     by_value
      - .address_space:  global
        .offset:         40
        .size:           8
        .value_kind:     global_buffer
      - .offset:         48
        .size:           8
        .value_kind:     by_value
      - .offset:         56
        .size:           8
        .value_kind:     by_value
      - .offset:         64
        .size:           4
        .value_kind:     by_value
    .group_segment_fixed_size: 0
    .kernarg_segment_align: 8
    .kernarg_segment_size: 68
    .language:       OpenCL C
    .language_version:
      - 2
      - 0
    .max_flat_workgroup_size: 256
    .name:           _ZL26rocblas_haxpy_mlt_8_kernelILi256EDF16_PKPKDF16_PKPDF16_EviT0_lT1_llT2_lli
    .private_segment_fixed_size: 0
    .sgpr_count:     18
    .sgpr_spill_count: 0
    .symbol:         _ZL26rocblas_haxpy_mlt_8_kernelILi256EDF16_PKPKDF16_PKPDF16_EviT0_lT1_llT2_lli.kd
    .uniform_work_group_size: 1
    .uses_dynamic_stack: false
    .vgpr_count:     10
    .vgpr_spill_count: 0
    .wavefront_size: 32
    .workgroup_processor_mode: 1
  - .args:
      - .offset:         0
        .size:           4
        .value_kind:     by_value
      - .offset:         4
        .size:           2
        .value_kind:     by_value
      - .offset:         8
        .size:           8
        .value_kind:     by_value
      - .address_space:  global
        .offset:         16
        .size:           8
        .value_kind:     global_buffer
      - .offset:         24
        .size:           8
        .value_kind:     by_value
      - .offset:         32
        .size:           8
        .value_kind:     by_value
      - .address_space:  global
        .offset:         40
        .size:           8
        .value_kind:     global_buffer
      - .offset:         48
        .size:           8
        .value_kind:     by_value
      - .offset:         56
        .size:           8
        .value_kind:     by_value
      - .offset:         64
        .size:           4
        .value_kind:     by_value
    .group_segment_fixed_size: 0
    .kernarg_segment_align: 8
    .kernarg_segment_size: 68
    .language:       OpenCL C
    .language_version:
      - 2
      - 0
    .max_flat_workgroup_size: 256
    .name:           _ZL26rocblas_haxpy_mod_8_kernelILi256EDF16_PKPKDF16_PKPDF16_EviT0_lT1_llT2_lli
    .private_segment_fixed_size: 0
    .sgpr_count:     18
    .sgpr_spill_count: 0
    .symbol:         _ZL26rocblas_haxpy_mod_8_kernelILi256EDF16_PKPKDF16_PKPDF16_EviT0_lT1_llT2_lli.kd
    .uniform_work_group_size: 1
    .uses_dynamic_stack: false
    .vgpr_count:     4
    .vgpr_spill_count: 0
    .wavefront_size: 32
    .workgroup_processor_mode: 1
  - .args:
      - .offset:         0
        .size:           4
        .value_kind:     by_value
      - .address_space:  global
        .offset:         8
        .size:           8
        .value_kind:     global_buffer
      - .offset:         16
        .size:           8
        .value_kind:     by_value
      - .actual_access:  read_only
        .address_space:  global
        .offset:         24
        .size:           8
        .value_kind:     global_buffer
      - .offset:         32
        .size:           8
        .value_kind:     by_value
      - .offset:         40
        .size:           8
        .value_kind:     by_value
      - .actual_access:  read_only
        .address_space:  global
        .offset:         48
        .size:           8
        .value_kind:     global_buffer
      - .offset:         56
        .size:           8
        .value_kind:     by_value
      - .offset:         64
        .size:           8
        .value_kind:     by_value
      - .offset:         72
        .size:           4
        .value_kind:     by_value
    .group_segment_fixed_size: 0
    .kernarg_segment_align: 8
    .kernarg_segment_size: 76
    .language:       OpenCL C
    .language_version:
      - 2
      - 0
    .max_flat_workgroup_size: 256
    .name:           _ZL22rocblas_saxpy_2_kernelILi256EDF16_PKDF16_PKS1_PKPDF16_EviT1_lT2_llT3_lli
    .private_segment_fixed_size: 0
    .sgpr_count:     22
    .sgpr_spill_count: 0
    .symbol:         _ZL22rocblas_saxpy_2_kernelILi256EDF16_PKDF16_PKS1_PKPDF16_EviT1_lT2_llT3_lli.kd
    .uniform_work_group_size: 1
    .uses_dynamic_stack: false
    .vgpr_count:     12
    .vgpr_spill_count: 0
    .wavefront_size: 32
    .workgroup_processor_mode: 1
  - .args:
      - .offset:         0
        .size:           4
        .value_kind:     by_value
      - .offset:         4
        .size:           2
        .value_kind:     by_value
      - .offset:         8
        .size:           8
        .value_kind:     by_value
      - .actual_access:  read_only
        .address_space:  global
        .offset:         16
        .size:           8
        .value_kind:     global_buffer
      - .offset:         24
        .size:           8
        .value_kind:     by_value
      - .offset:         32
        .size:           8
        .value_kind:     by_value
      - .actual_access:  read_only
        .address_space:  global
        .offset:         40
        .size:           8
        .value_kind:     global_buffer
      - .offset:         48
        .size:           8
        .value_kind:     by_value
      - .offset:         56
        .size:           8
        .value_kind:     by_value
      - .offset:         64
        .size:           4
        .value_kind:     by_value
    .group_segment_fixed_size: 0
    .kernarg_segment_align: 8
    .kernarg_segment_size: 68
    .language:       OpenCL C
    .language_version:
      - 2
      - 0
    .max_flat_workgroup_size: 256
    .name:           _ZL22rocblas_saxpy_2_kernelILi256EDF16_DF16_PKPKDF16_PKPDF16_EviT1_lT2_llT3_lli
    .private_segment_fixed_size: 0
    .sgpr_count:     22
    .sgpr_spill_count: 0
    .symbol:         _ZL22rocblas_saxpy_2_kernelILi256EDF16_DF16_PKPKDF16_PKPDF16_EviT1_lT2_llT3_lli.kd
    .uniform_work_group_size: 1
    .uses_dynamic_stack: false
    .vgpr_count:     11
    .vgpr_spill_count: 0
    .wavefront_size: 32
    .workgroup_processor_mode: 1
  - .args:
      - .offset:         0
        .size:           4
        .value_kind:     by_value
      - .address_space:  global
        .offset:         8
        .size:           8
        .value_kind:     global_buffer
      - .offset:         16
        .size:           8
        .value_kind:     by_value
      - .address_space:  global
        .offset:         24
        .size:           8
        .value_kind:     global_buffer
      - .offset:         32
        .size:           8
        .value_kind:     by_value
      - .offset:         40
        .size:           4
        .value_kind:     by_value
      - .offset:         48
        .size:           8
        .value_kind:     by_value
      - .address_space:  global
        .offset:         56
        .size:           8
        .value_kind:     global_buffer
      - .offset:         64
        .size:           8
        .value_kind:     by_value
      - .offset:         72
        .size:           4
        .value_kind:     by_value
      - .offset:         80
        .size:           8
        .value_kind:     by_value
      - .offset:         88
        .size:           4
        .value_kind:     by_value
    .group_segment_fixed_size: 0
    .kernarg_segment_align: 8
    .kernarg_segment_size: 92
    .language:       OpenCL C
    .language_version:
      - 2
      - 0
    .max_flat_workgroup_size: 1024
    .name:           _ZL27rocblas_axpy_kernel_batchedIiLi128ELi8EDF16_PKDF16_PKS1_PKPDF16_EviT3_lT4_lT_lT5_lS9_li
    .private_segment_fixed_size: 0
    .sgpr_count:     20
    .sgpr_spill_count: 0
    .symbol:         _ZL27rocblas_axpy_kernel_batchedIiLi128ELi8EDF16_PKDF16_PKS1_PKPDF16_EviT3_lT4_lT_lT5_lS9_li.kd
    .uniform_work_group_size: 1
    .uses_dynamic_stack: false
    .vgpr_count:     14
    .vgpr_spill_count: 0
    .wavefront_size: 32
    .workgroup_processor_mode: 1
  - .args:
      - .offset:         0
        .size:           4
        .value_kind:     by_value
      - .offset:         4
        .size:           2
        .value_kind:     by_value
      - .offset:         8
        .size:           8
        .value_kind:     by_value
      - .address_space:  global
        .offset:         16
        .size:           8
        .value_kind:     global_buffer
      - .offset:         24
        .size:           8
        .value_kind:     by_value
      - .offset:         32
        .size:           4
        .value_kind:     by_value
      - .offset:         40
        .size:           8
        .value_kind:     by_value
      - .address_space:  global
        .offset:         48
        .size:           8
        .value_kind:     global_buffer
      - .offset:         56
        .size:           8
        .value_kind:     by_value
      - .offset:         64
        .size:           4
        .value_kind:     by_value
      - .offset:         72
        .size:           8
        .value_kind:     by_value
      - .offset:         80
        .size:           4
        .value_kind:     by_value
    .group_segment_fixed_size: 0
    .kernarg_segment_align: 8
    .kernarg_segment_size: 84
    .language:       OpenCL C
    .language_version:
      - 2
      - 0
    .max_flat_workgroup_size: 1024
    .name:           _ZL27rocblas_axpy_kernel_batchedIiLi128ELi8EDF16_DF16_PKPKDF16_PKPDF16_EviT3_lT4_lT_lT5_lS9_li
    .private_segment_fixed_size: 0
    .sgpr_count:     18
    .sgpr_spill_count: 0
    .symbol:         _ZL27rocblas_axpy_kernel_batchedIiLi128ELi8EDF16_DF16_PKPKDF16_PKPDF16_EviT3_lT4_lT_lT5_lS9_li.kd
    .uniform_work_group_size: 1
    .uses_dynamic_stack: false
    .vgpr_count:     11
    .vgpr_spill_count: 0
    .wavefront_size: 32
    .workgroup_processor_mode: 1
  - .args:
      - .offset:         0
        .size:           4
        .value_kind:     by_value
      - .address_space:  global
        .offset:         8
        .size:           8
        .value_kind:     global_buffer
      - .offset:         16
        .size:           8
        .value_kind:     by_value
      - .actual_access:  read_only
        .address_space:  global
        .offset:         24
        .size:           8
        .value_kind:     global_buffer
      - .offset:         32
        .size:           8
        .value_kind:     by_value
      - .offset:         40
        .size:           4
        .value_kind:     by_value
      - .offset:         48
        .size:           8
        .value_kind:     by_value
      - .actual_access:  read_only
        .address_space:  global
        .offset:         56
        .size:           8
        .value_kind:     global_buffer
      - .offset:         64
        .size:           8
        .value_kind:     by_value
      - .offset:         72
        .size:           4
        .value_kind:     by_value
      - .offset:         80
        .size:           8
        .value_kind:     by_value
      - .offset:         88
        .size:           4
        .value_kind:     by_value
    .group_segment_fixed_size: 0
    .kernarg_segment_align: 8
    .kernarg_segment_size: 92
    .language:       OpenCL C
    .language_version:
      - 2
      - 0
    .max_flat_workgroup_size: 256
    .name:           _ZL19rocblas_axpy_kernelIiLi256EDF16_PKDF16_PKS1_PKPDF16_EviT2_lT3_lT_lT4_lS9_li
    .private_segment_fixed_size: 0
    .sgpr_count:     18
    .sgpr_spill_count: 0
    .symbol:         _ZL19rocblas_axpy_kernelIiLi256EDF16_PKDF16_PKS1_PKPDF16_EviT2_lT3_lT_lT4_lS9_li.kd
    .uniform_work_group_size: 1
    .uses_dynamic_stack: false
    .vgpr_count:     9
    .vgpr_spill_count: 0
    .wavefront_size: 32
    .workgroup_processor_mode: 1
  - .args:
      - .offset:         0
        .size:           4
        .value_kind:     by_value
      - .offset:         4
        .size:           2
        .value_kind:     by_value
      - .offset:         8
        .size:           8
        .value_kind:     by_value
      - .actual_access:  read_only
        .address_space:  global
        .offset:         16
        .size:           8
        .value_kind:     global_buffer
      - .offset:         24
        .size:           8
        .value_kind:     by_value
      - .offset:         32
        .size:           4
        .value_kind:     by_value
      - .offset:         40
        .size:           8
        .value_kind:     by_value
      - .actual_access:  read_only
        .address_space:  global
        .offset:         48
        .size:           8
        .value_kind:     global_buffer
      - .offset:         56
        .size:           8
        .value_kind:     by_value
      - .offset:         64
        .size:           4
        .value_kind:     by_value
      - .offset:         72
        .size:           8
        .value_kind:     by_value
      - .offset:         80
        .size:           4
        .value_kind:     by_value
    .group_segment_fixed_size: 0
    .kernarg_segment_align: 8
    .kernarg_segment_size: 84
    .language:       OpenCL C
    .language_version:
      - 2
      - 0
    .max_flat_workgroup_size: 256
    .name:           _ZL19rocblas_axpy_kernelIiLi256EDF16_DF16_PKPKDF16_PKPDF16_EviT2_lT3_lT_lT4_lS9_li
    .private_segment_fixed_size: 0
    .sgpr_count:     19
    .sgpr_spill_count: 0
    .symbol:         _ZL19rocblas_axpy_kernelIiLi256EDF16_DF16_PKPKDF16_PKPDF16_EviT2_lT3_lT_lT4_lS9_li.kd
    .uniform_work_group_size: 1
    .uses_dynamic_stack: false
    .vgpr_count:     8
    .vgpr_spill_count: 0
    .wavefront_size: 32
    .workgroup_processor_mode: 1
  - .args:
      - .offset:         0
        .size:           4
        .value_kind:     by_value
      - .address_space:  global
        .offset:         8
        .size:           8
        .value_kind:     global_buffer
      - .offset:         16
        .size:           8
        .value_kind:     by_value
      - .actual_access:  read_only
        .address_space:  global
        .offset:         24
        .size:           8
        .value_kind:     global_buffer
      - .offset:         32
        .size:           8
        .value_kind:     by_value
      - .offset:         40
        .size:           8
        .value_kind:     by_value
      - .offset:         48
        .size:           8
        .value_kind:     by_value
      - .actual_access:  read_only
        .address_space:  global
        .offset:         56
        .size:           8
        .value_kind:     global_buffer
      - .offset:         64
        .size:           8
        .value_kind:     by_value
      - .offset:         72
        .size:           8
        .value_kind:     by_value
      - .offset:         80
        .size:           8
        .value_kind:     by_value
      - .offset:         88
        .size:           4
        .value_kind:     by_value
    .group_segment_fixed_size: 0
    .kernarg_segment_align: 8
    .kernarg_segment_size: 92
    .language:       OpenCL C
    .language_version:
      - 2
      - 0
    .max_flat_workgroup_size: 256
    .name:           _ZL19rocblas_axpy_kernelIlLi256EDF16_PKDF16_PKS1_PKPDF16_EviT2_lT3_lT_lT4_lS9_li
    .private_segment_fixed_size: 0
    .sgpr_count:     18
    .sgpr_spill_count: 0
    .symbol:         _ZL19rocblas_axpy_kernelIlLi256EDF16_PKDF16_PKS1_PKPDF16_EviT2_lT3_lT_lT4_lS9_li.kd
    .uniform_work_group_size: 1
    .uses_dynamic_stack: false
    .vgpr_count:     9
    .vgpr_spill_count: 0
    .wavefront_size: 32
    .workgroup_processor_mode: 1
  - .args:
      - .offset:         0
        .size:           4
        .value_kind:     by_value
      - .offset:         4
        .size:           2
        .value_kind:     by_value
      - .offset:         8
        .size:           8
        .value_kind:     by_value
      - .actual_access:  read_only
        .address_space:  global
        .offset:         16
        .size:           8
        .value_kind:     global_buffer
      - .offset:         24
        .size:           8
        .value_kind:     by_value
      - .offset:         32
        .size:           8
        .value_kind:     by_value
      - .offset:         40
        .size:           8
        .value_kind:     by_value
      - .actual_access:  read_only
        .address_space:  global
        .offset:         48
        .size:           8
        .value_kind:     global_buffer
      - .offset:         56
        .size:           8
        .value_kind:     by_value
      - .offset:         64
        .size:           8
        .value_kind:     by_value
      - .offset:         72
        .size:           8
        .value_kind:     by_value
      - .offset:         80
        .size:           4
        .value_kind:     by_value
    .group_segment_fixed_size: 0
    .kernarg_segment_align: 8
    .kernarg_segment_size: 84
    .language:       OpenCL C
    .language_version:
      - 2
      - 0
    .max_flat_workgroup_size: 256
    .name:           _ZL19rocblas_axpy_kernelIlLi256EDF16_DF16_PKPKDF16_PKPDF16_EviT2_lT3_lT_lT4_lS9_li
    .private_segment_fixed_size: 0
    .sgpr_count:     18
    .sgpr_spill_count: 0
    .symbol:         _ZL19rocblas_axpy_kernelIlLi256EDF16_DF16_PKPKDF16_PKPDF16_EviT2_lT3_lT_lT4_lS9_li.kd
    .uniform_work_group_size: 1
    .uses_dynamic_stack: false
    .vgpr_count:     8
    .vgpr_spill_count: 0
    .wavefront_size: 32
    .workgroup_processor_mode: 1
  - .args:
      - .offset:         0
        .size:           4
        .value_kind:     by_value
      - .address_space:  global
        .offset:         8
        .size:           8
        .value_kind:     global_buffer
      - .offset:         16
        .size:           8
        .value_kind:     by_value
      - .address_space:  global
        .offset:         24
        .size:           8
        .value_kind:     global_buffer
      - .offset:         32
        .size:           8
        .value_kind:     by_value
      - .offset:         40
        .size:           8
        .value_kind:     by_value
      - .address_space:  global
        .offset:         48
        .size:           8
        .value_kind:     global_buffer
      - .offset:         56
        .size:           8
        .value_kind:     by_value
      - .offset:         64
        .size:           8
        .value_kind:     by_value
      - .offset:         72
        .size:           4
        .value_kind:     by_value
    .group_segment_fixed_size: 0
    .kernarg_segment_align: 8
    .kernarg_segment_size: 76
    .language:       OpenCL C
    .language_version:
      - 2
      - 0
    .max_flat_workgroup_size: 256
    .name:           _ZL26rocblas_haxpy_mlt_8_kernelILi256EPKDF16_PKPKfPKPfEviT0_lT1_llT2_lli
    .private_segment_fixed_size: 0
    .sgpr_count:     18
    .sgpr_spill_count: 0
    .symbol:         _ZL26rocblas_haxpy_mlt_8_kernelILi256EPKDF16_PKPKfPKPfEviT0_lT1_llT2_lli.kd
    .uniform_work_group_size: 1
    .uses_dynamic_stack: false
    .vgpr_count:     11
    .vgpr_spill_count: 0
    .wavefront_size: 32
    .workgroup_processor_mode: 1
  - .args:
      - .offset:         0
        .size:           4
        .value_kind:     by_value
      - .address_space:  global
        .offset:         8
        .size:           8
        .value_kind:     global_buffer
      - .offset:         16
        .size:           8
        .value_kind:     by_value
      - .address_space:  global
        .offset:         24
        .size:           8
        .value_kind:     global_buffer
      - .offset:         32
        .size:           8
        .value_kind:     by_value
      - .offset:         40
        .size:           8
        .value_kind:     by_value
      - .address_space:  global
        .offset:         48
        .size:           8
        .value_kind:     global_buffer
      - .offset:         56
        .size:           8
        .value_kind:     by_value
      - .offset:         64
        .size:           8
        .value_kind:     by_value
      - .offset:         72
        .size:           4
        .value_kind:     by_value
    .group_segment_fixed_size: 0
    .kernarg_segment_align: 8
    .kernarg_segment_size: 76
    .language:       OpenCL C
    .language_version:
      - 2
      - 0
    .max_flat_workgroup_size: 256
    .name:           _ZL26rocblas_haxpy_mod_8_kernelILi256EPKfPKS1_PKPfEviT0_lT1_llT2_lli
    .private_segment_fixed_size: 0
    .sgpr_count:     18
    .sgpr_spill_count: 0
    .symbol:         _ZL26rocblas_haxpy_mod_8_kernelILi256EPKfPKS1_PKPfEviT0_lT1_llT2_lli.kd
    .uniform_work_group_size: 1
    .uses_dynamic_stack: false
    .vgpr_count:     4
    .vgpr_spill_count: 0
    .wavefront_size: 32
    .workgroup_processor_mode: 1
  - .args:
      - .offset:         0
        .size:           4
        .value_kind:     by_value
      - .offset:         4
        .size:           2
        .value_kind:     by_value
      - .offset:         8
        .size:           8
        .value_kind:     by_value
      - .address_space:  global
        .offset:         16
        .size:           8
        .value_kind:     global_buffer
      - .offset:         24
        .size:           8
        .value_kind:     by_value
      - .offset:         32
        .size:           8
        .value_kind:     by_value
      - .address_space:  global
        .offset:         40
        .size:           8
        .value_kind:     global_buffer
      - .offset:         48
        .size:           8
        .value_kind:     by_value
      - .offset:         56
        .size:           8
        .value_kind:     by_value
      - .offset:         64
        .size:           4
        .value_kind:     by_value
    .group_segment_fixed_size: 0
    .kernarg_segment_align: 8
    .kernarg_segment_size: 68
    .language:       OpenCL C
    .language_version:
      - 2
      - 0
    .max_flat_workgroup_size: 256
    .name:           _ZL26rocblas_haxpy_mlt_8_kernelILi256EDF16_PKPKfPKPfEviT0_lT1_llT2_lli
    .private_segment_fixed_size: 0
    .sgpr_count:     18
    .sgpr_spill_count: 0
    .symbol:         _ZL26rocblas_haxpy_mlt_8_kernelILi256EDF16_PKPKfPKPfEviT0_lT1_llT2_lli.kd
    .uniform_work_group_size: 1
    .uses_dynamic_stack: false
    .vgpr_count:     10
    .vgpr_spill_count: 0
    .wavefront_size: 32
    .workgroup_processor_mode: 1
  - .args:
      - .offset:         0
        .size:           4
        .value_kind:     by_value
      - .offset:         4
        .size:           4
        .value_kind:     by_value
      - .offset:         8
        .size:           8
        .value_kind:     by_value
      - .address_space:  global
        .offset:         16
        .size:           8
        .value_kind:     global_buffer
      - .offset:         24
        .size:           8
        .value_kind:     by_value
      - .offset:         32
        .size:           8
        .value_kind:     by_value
      - .address_space:  global
        .offset:         40
        .size:           8
        .value_kind:     global_buffer
      - .offset:         48
        .size:           8
        .value_kind:     by_value
      - .offset:         56
        .size:           8
        .value_kind:     by_value
      - .offset:         64
        .size:           4
        .value_kind:     by_value
    .group_segment_fixed_size: 0
    .kernarg_segment_align: 8
    .kernarg_segment_size: 68
    .language:       OpenCL C
    .language_version:
      - 2
      - 0
    .max_flat_workgroup_size: 256
    .name:           _ZL26rocblas_haxpy_mod_8_kernelILi256EfPKPKfPKPfEviT0_lT1_llT2_lli
    .private_segment_fixed_size: 0
    .sgpr_count:     18
    .sgpr_spill_count: 0
    .symbol:         _ZL26rocblas_haxpy_mod_8_kernelILi256EfPKPKfPKPfEviT0_lT1_llT2_lli.kd
    .uniform_work_group_size: 1
    .uses_dynamic_stack: false
    .vgpr_count:     4
    .vgpr_spill_count: 0
    .wavefront_size: 32
    .workgroup_processor_mode: 1
  - .args:
      - .offset:         0
        .size:           4
        .value_kind:     by_value
      - .address_space:  global
        .offset:         8
        .size:           8
        .value_kind:     global_buffer
      - .offset:         16
        .size:           8
        .value_kind:     by_value
      - .actual_access:  read_only
        .address_space:  global
        .offset:         24
        .size:           8
        .value_kind:     global_buffer
      - .offset:         32
        .size:           8
        .value_kind:     by_value
      - .offset:         40
        .size:           8
        .value_kind:     by_value
      - .actual_access:  read_only
        .address_space:  global
        .offset:         48
        .size:           8
        .value_kind:     global_buffer
      - .offset:         56
        .size:           8
        .value_kind:     by_value
      - .offset:         64
        .size:           8
        .value_kind:     by_value
      - .offset:         72
        .size:           4
        .value_kind:     by_value
    .group_segment_fixed_size: 0
    .kernarg_segment_align: 8
    .kernarg_segment_size: 76
    .language:       OpenCL C
    .language_version:
      - 2
      - 0
    .max_flat_workgroup_size: 256
    .name:           _ZL22rocblas_saxpy_2_kernelILi256EfPKfPKS1_PKPfEviT1_lT2_llT3_lli
    .private_segment_fixed_size: 0
    .sgpr_count:     22
    .sgpr_spill_count: 0
    .symbol:         _ZL22rocblas_saxpy_2_kernelILi256EfPKfPKS1_PKPfEviT1_lT2_llT3_lli.kd
    .uniform_work_group_size: 1
    .uses_dynamic_stack: false
    .vgpr_count:     11
    .vgpr_spill_count: 0
    .wavefront_size: 32
    .workgroup_processor_mode: 1
  - .args:
      - .offset:         0
        .size:           4
        .value_kind:     by_value
      - .offset:         4
        .size:           4
        .value_kind:     by_value
      - .offset:         8
        .size:           8
        .value_kind:     by_value
      - .actual_access:  read_only
        .address_space:  global
        .offset:         16
        .size:           8
        .value_kind:     global_buffer
      - .offset:         24
        .size:           8
        .value_kind:     by_value
      - .offset:         32
        .size:           8
        .value_kind:     by_value
      - .actual_access:  read_only
        .address_space:  global
        .offset:         40
        .size:           8
        .value_kind:     global_buffer
      - .offset:         48
        .size:           8
        .value_kind:     by_value
      - .offset:         56
        .size:           8
        .value_kind:     by_value
      - .offset:         64
        .size:           4
        .value_kind:     by_value
    .group_segment_fixed_size: 0
    .kernarg_segment_align: 8
    .kernarg_segment_size: 68
    .language:       OpenCL C
    .language_version:
      - 2
      - 0
    .max_flat_workgroup_size: 256
    .name:           _ZL22rocblas_saxpy_2_kernelILi256EffPKPKfPKPfEviT1_lT2_llT3_lli
    .private_segment_fixed_size: 0
    .sgpr_count:     22
    .sgpr_spill_count: 0
    .symbol:         _ZL22rocblas_saxpy_2_kernelILi256EffPKPKfPKPfEviT1_lT2_llT3_lli.kd
    .uniform_work_group_size: 1
    .uses_dynamic_stack: false
    .vgpr_count:     11
    .vgpr_spill_count: 0
    .wavefront_size: 32
    .workgroup_processor_mode: 1
  - .args:
      - .offset:         0
        .size:           4
        .value_kind:     by_value
      - .address_space:  global
        .offset:         8
        .size:           8
        .value_kind:     global_buffer
      - .offset:         16
        .size:           8
        .value_kind:     by_value
      - .address_space:  global
        .offset:         24
        .size:           8
        .value_kind:     global_buffer
      - .offset:         32
        .size:           8
        .value_kind:     by_value
      - .offset:         40
        .size:           4
        .value_kind:     by_value
      - .offset:         48
        .size:           8
        .value_kind:     by_value
      - .address_space:  global
        .offset:         56
        .size:           8
        .value_kind:     global_buffer
      - .offset:         64
        .size:           8
        .value_kind:     by_value
      - .offset:         72
        .size:           4
        .value_kind:     by_value
      - .offset:         80
        .size:           8
        .value_kind:     by_value
      - .offset:         88
        .size:           4
        .value_kind:     by_value
    .group_segment_fixed_size: 0
    .kernarg_segment_align: 8
    .kernarg_segment_size: 92
    .language:       OpenCL C
    .language_version:
      - 2
      - 0
    .max_flat_workgroup_size: 1024
    .name:           _ZL27rocblas_axpy_kernel_batchedIiLi128ELi8EfPKfPKS1_PKPfEviT3_lT4_lT_lT5_lS9_li
    .private_segment_fixed_size: 0
    .sgpr_count:     20
    .sgpr_spill_count: 0
    .symbol:         _ZL27rocblas_axpy_kernel_batchedIiLi128ELi8EfPKfPKS1_PKPfEviT3_lT4_lT_lT5_lS9_li.kd
    .uniform_work_group_size: 1
    .uses_dynamic_stack: false
    .vgpr_count:     14
    .vgpr_spill_count: 0
    .wavefront_size: 32
    .workgroup_processor_mode: 1
  - .args:
      - .offset:         0
        .size:           4
        .value_kind:     by_value
      - .offset:         4
        .size:           4
        .value_kind:     by_value
      - .offset:         8
        .size:           8
        .value_kind:     by_value
      - .address_space:  global
        .offset:         16
        .size:           8
        .value_kind:     global_buffer
      - .offset:         24
        .size:           8
        .value_kind:     by_value
      - .offset:         32
        .size:           4
        .value_kind:     by_value
      - .offset:         40
        .size:           8
        .value_kind:     by_value
      - .address_space:  global
        .offset:         48
        .size:           8
        .value_kind:     global_buffer
      - .offset:         56
        .size:           8
        .value_kind:     by_value
      - .offset:         64
        .size:           4
        .value_kind:     by_value
      - .offset:         72
        .size:           8
        .value_kind:     by_value
      - .offset:         80
        .size:           4
        .value_kind:     by_value
    .group_segment_fixed_size: 0
    .kernarg_segment_align: 8
    .kernarg_segment_size: 84
    .language:       OpenCL C
    .language_version:
      - 2
      - 0
    .max_flat_workgroup_size: 1024
    .name:           _ZL27rocblas_axpy_kernel_batchedIiLi128ELi8EffPKPKfPKPfEviT3_lT4_lT_lT5_lS9_li
    .private_segment_fixed_size: 0
    .sgpr_count:     18
    .sgpr_spill_count: 0
    .symbol:         _ZL27rocblas_axpy_kernel_batchedIiLi128ELi8EffPKPKfPKPfEviT3_lT4_lT_lT5_lS9_li.kd
    .uniform_work_group_size: 1
    .uses_dynamic_stack: false
    .vgpr_count:     11
    .vgpr_spill_count: 0
    .wavefront_size: 32
    .workgroup_processor_mode: 1
  - .args:
      - .offset:         0
        .size:           4
        .value_kind:     by_value
      - .address_space:  global
        .offset:         8
        .size:           8
        .value_kind:     global_buffer
      - .offset:         16
        .size:           8
        .value_kind:     by_value
      - .actual_access:  read_only
        .address_space:  global
        .offset:         24
        .size:           8
        .value_kind:     global_buffer
      - .offset:         32
        .size:           8
        .value_kind:     by_value
      - .offset:         40
        .size:           4
        .value_kind:     by_value
      - .offset:         48
        .size:           8
        .value_kind:     by_value
      - .actual_access:  read_only
        .address_space:  global
        .offset:         56
        .size:           8
        .value_kind:     global_buffer
      - .offset:         64
        .size:           8
        .value_kind:     by_value
      - .offset:         72
        .size:           4
        .value_kind:     by_value
      - .offset:         80
        .size:           8
        .value_kind:     by_value
      - .offset:         88
        .size:           4
        .value_kind:     by_value
    .group_segment_fixed_size: 0
    .kernarg_segment_align: 8
    .kernarg_segment_size: 92
    .language:       OpenCL C
    .language_version:
      - 2
      - 0
    .max_flat_workgroup_size: 256
    .name:           _ZL19rocblas_axpy_kernelIiLi256EfPKfPKS1_PKPfEviT2_lT3_lT_lT4_lS9_li
    .private_segment_fixed_size: 0
    .sgpr_count:     18
    .sgpr_spill_count: 0
    .symbol:         _ZL19rocblas_axpy_kernelIiLi256EfPKfPKS1_PKPfEviT2_lT3_lT_lT4_lS9_li.kd
    .uniform_work_group_size: 1
    .uses_dynamic_stack: false
    .vgpr_count:     8
    .vgpr_spill_count: 0
    .wavefront_size: 32
    .workgroup_processor_mode: 1
  - .args:
      - .offset:         0
        .size:           4
        .value_kind:     by_value
      - .offset:         4
        .size:           4
        .value_kind:     by_value
      - .offset:         8
        .size:           8
        .value_kind:     by_value
      - .actual_access:  read_only
        .address_space:  global
        .offset:         16
        .size:           8
        .value_kind:     global_buffer
      - .offset:         24
        .size:           8
        .value_kind:     by_value
      - .offset:         32
        .size:           4
        .value_kind:     by_value
      - .offset:         40
        .size:           8
        .value_kind:     by_value
      - .actual_access:  read_only
        .address_space:  global
        .offset:         48
        .size:           8
        .value_kind:     global_buffer
      - .offset:         56
        .size:           8
        .value_kind:     by_value
      - .offset:         64
        .size:           4
        .value_kind:     by_value
      - .offset:         72
        .size:           8
        .value_kind:     by_value
      - .offset:         80
        .size:           4
        .value_kind:     by_value
    .group_segment_fixed_size: 0
    .kernarg_segment_align: 8
    .kernarg_segment_size: 84
    .language:       OpenCL C
    .language_version:
      - 2
      - 0
    .max_flat_workgroup_size: 256
    .name:           _ZL19rocblas_axpy_kernelIiLi256EffPKPKfPKPfEviT2_lT3_lT_lT4_lS9_li
    .private_segment_fixed_size: 0
    .sgpr_count:     19
    .sgpr_spill_count: 0
    .symbol:         _ZL19rocblas_axpy_kernelIiLi256EffPKPKfPKPfEviT2_lT3_lT_lT4_lS9_li.kd
    .uniform_work_group_size: 1
    .uses_dynamic_stack: false
    .vgpr_count:     8
    .vgpr_spill_count: 0
    .wavefront_size: 32
    .workgroup_processor_mode: 1
  - .args:
      - .offset:         0
        .size:           4
        .value_kind:     by_value
      - .address_space:  global
        .offset:         8
        .size:           8
        .value_kind:     global_buffer
      - .offset:         16
        .size:           8
        .value_kind:     by_value
      - .actual_access:  read_only
        .address_space:  global
        .offset:         24
        .size:           8
        .value_kind:     global_buffer
      - .offset:         32
        .size:           8
        .value_kind:     by_value
      - .offset:         40
        .size:           8
        .value_kind:     by_value
      - .offset:         48
        .size:           8
        .value_kind:     by_value
      - .actual_access:  read_only
        .address_space:  global
        .offset:         56
        .size:           8
        .value_kind:     global_buffer
      - .offset:         64
        .size:           8
        .value_kind:     by_value
      - .offset:         72
        .size:           8
        .value_kind:     by_value
      - .offset:         80
        .size:           8
        .value_kind:     by_value
      - .offset:         88
        .size:           4
        .value_kind:     by_value
    .group_segment_fixed_size: 0
    .kernarg_segment_align: 8
    .kernarg_segment_size: 92
    .language:       OpenCL C
    .language_version:
      - 2
      - 0
    .max_flat_workgroup_size: 256
    .name:           _ZL19rocblas_axpy_kernelIlLi256EfPKfPKS1_PKPfEviT2_lT3_lT_lT4_lS9_li
    .private_segment_fixed_size: 0
    .sgpr_count:     18
    .sgpr_spill_count: 0
    .symbol:         _ZL19rocblas_axpy_kernelIlLi256EfPKfPKS1_PKPfEviT2_lT3_lT_lT4_lS9_li.kd
    .uniform_work_group_size: 1
    .uses_dynamic_stack: false
    .vgpr_count:     8
    .vgpr_spill_count: 0
    .wavefront_size: 32
    .workgroup_processor_mode: 1
  - .args:
      - .offset:         0
        .size:           4
        .value_kind:     by_value
      - .offset:         4
        .size:           4
        .value_kind:     by_value
      - .offset:         8
        .size:           8
        .value_kind:     by_value
      - .actual_access:  read_only
        .address_space:  global
        .offset:         16
        .size:           8
        .value_kind:     global_buffer
      - .offset:         24
        .size:           8
        .value_kind:     by_value
      - .offset:         32
        .size:           8
        .value_kind:     by_value
      - .offset:         40
        .size:           8
        .value_kind:     by_value
      - .actual_access:  read_only
        .address_space:  global
        .offset:         48
        .size:           8
        .value_kind:     global_buffer
      - .offset:         56
        .size:           8
        .value_kind:     by_value
      - .offset:         64
        .size:           8
        .value_kind:     by_value
      - .offset:         72
        .size:           8
        .value_kind:     by_value
      - .offset:         80
        .size:           4
        .value_kind:     by_value
    .group_segment_fixed_size: 0
    .kernarg_segment_align: 8
    .kernarg_segment_size: 84
    .language:       OpenCL C
    .language_version:
      - 2
      - 0
    .max_flat_workgroup_size: 256
    .name:           _ZL19rocblas_axpy_kernelIlLi256EffPKPKfPKPfEviT2_lT3_lT_lT4_lS9_li
    .private_segment_fixed_size: 0
    .sgpr_count:     18
    .sgpr_spill_count: 0
    .symbol:         _ZL19rocblas_axpy_kernelIlLi256EffPKPKfPKPfEviT2_lT3_lT_lT4_lS9_li.kd
    .uniform_work_group_size: 1
    .uses_dynamic_stack: false
    .vgpr_count:     8
    .vgpr_spill_count: 0
    .wavefront_size: 32
    .workgroup_processor_mode: 1
  - .args:
      - .offset:         0
        .size:           4
        .value_kind:     by_value
      - .address_space:  global
        .offset:         8
        .size:           8
        .value_kind:     global_buffer
      - .offset:         16
        .size:           8
        .value_kind:     by_value
      - .address_space:  global
        .offset:         24
        .size:           8
        .value_kind:     global_buffer
      - .offset:         32
        .size:           8
        .value_kind:     by_value
      - .offset:         40
        .size:           8
        .value_kind:     by_value
      - .address_space:  global
        .offset:         48
        .size:           8
        .value_kind:     global_buffer
      - .offset:         56
        .size:           8
        .value_kind:     by_value
      - .offset:         64
        .size:           8
        .value_kind:     by_value
      - .offset:         72
        .size:           4
        .value_kind:     by_value
    .group_segment_fixed_size: 0
    .kernarg_segment_align: 8
    .kernarg_segment_size: 76
    .language:       OpenCL C
    .language_version:
      - 2
      - 0
    .max_flat_workgroup_size: 256
    .name:           _ZL26rocblas_haxpy_mlt_8_kernelILi256EPKDF16_PKPKdPKPdEviT0_lT1_llT2_lli
    .private_segment_fixed_size: 0
    .sgpr_count:     18
    .sgpr_spill_count: 0
    .symbol:         _ZL26rocblas_haxpy_mlt_8_kernelILi256EPKDF16_PKPKdPKPdEviT0_lT1_llT2_lli.kd
    .uniform_work_group_size: 1
    .uses_dynamic_stack: false
    .vgpr_count:     11
    .vgpr_spill_count: 0
    .wavefront_size: 32
    .workgroup_processor_mode: 1
  - .args:
      - .offset:         0
        .size:           4
        .value_kind:     by_value
      - .address_space:  global
        .offset:         8
        .size:           8
        .value_kind:     global_buffer
      - .offset:         16
        .size:           8
        .value_kind:     by_value
      - .address_space:  global
        .offset:         24
        .size:           8
        .value_kind:     global_buffer
      - .offset:         32
        .size:           8
        .value_kind:     by_value
      - .offset:         40
        .size:           8
        .value_kind:     by_value
      - .address_space:  global
        .offset:         48
        .size:           8
        .value_kind:     global_buffer
      - .offset:         56
        .size:           8
        .value_kind:     by_value
      - .offset:         64
        .size:           8
        .value_kind:     by_value
      - .offset:         72
        .size:           4
        .value_kind:     by_value
    .group_segment_fixed_size: 0
    .kernarg_segment_align: 8
    .kernarg_segment_size: 76
    .language:       OpenCL C
    .language_version:
      - 2
      - 0
    .max_flat_workgroup_size: 256
    .name:           _ZL26rocblas_haxpy_mod_8_kernelILi256EPKdPKS1_PKPdEviT0_lT1_llT2_lli
    .private_segment_fixed_size: 0
    .sgpr_count:     20
    .sgpr_spill_count: 0
    .symbol:         _ZL26rocblas_haxpy_mod_8_kernelILi256EPKdPKS1_PKPdEviT0_lT1_llT2_lli.kd
    .uniform_work_group_size: 1
    .uses_dynamic_stack: false
    .vgpr_count:     6
    .vgpr_spill_count: 0
    .wavefront_size: 32
    .workgroup_processor_mode: 1
  - .args:
      - .offset:         0
        .size:           4
        .value_kind:     by_value
      - .offset:         4
        .size:           2
        .value_kind:     by_value
      - .offset:         8
        .size:           8
        .value_kind:     by_value
      - .address_space:  global
        .offset:         16
        .size:           8
        .value_kind:     global_buffer
      - .offset:         24
        .size:           8
        .value_kind:     by_value
      - .offset:         32
        .size:           8
        .value_kind:     by_value
      - .address_space:  global
        .offset:         40
        .size:           8
        .value_kind:     global_buffer
      - .offset:         48
        .size:           8
        .value_kind:     by_value
      - .offset:         56
        .size:           8
        .value_kind:     by_value
      - .offset:         64
        .size:           4
        .value_kind:     by_value
    .group_segment_fixed_size: 0
    .kernarg_segment_align: 8
    .kernarg_segment_size: 68
    .language:       OpenCL C
    .language_version:
      - 2
      - 0
    .max_flat_workgroup_size: 256
    .name:           _ZL26rocblas_haxpy_mlt_8_kernelILi256EDF16_PKPKdPKPdEviT0_lT1_llT2_lli
    .private_segment_fixed_size: 0
    .sgpr_count:     18
    .sgpr_spill_count: 0
    .symbol:         _ZL26rocblas_haxpy_mlt_8_kernelILi256EDF16_PKPKdPKPdEviT0_lT1_llT2_lli.kd
    .uniform_work_group_size: 1
    .uses_dynamic_stack: false
    .vgpr_count:     10
    .vgpr_spill_count: 0
    .wavefront_size: 32
    .workgroup_processor_mode: 1
  - .args:
      - .offset:         0
        .size:           4
        .value_kind:     by_value
      - .offset:         8
        .size:           8
        .value_kind:     by_value
      - .offset:         16
        .size:           8
        .value_kind:     by_value
      - .address_space:  global
        .offset:         24
        .size:           8
        .value_kind:     global_buffer
      - .offset:         32
        .size:           8
        .value_kind:     by_value
      - .offset:         40
        .size:           8
        .value_kind:     by_value
      - .address_space:  global
        .offset:         48
        .size:           8
        .value_kind:     global_buffer
      - .offset:         56
        .size:           8
        .value_kind:     by_value
      - .offset:         64
        .size:           8
        .value_kind:     by_value
      - .offset:         72
        .size:           4
        .value_kind:     by_value
    .group_segment_fixed_size: 0
    .kernarg_segment_align: 8
    .kernarg_segment_size: 76
    .language:       OpenCL C
    .language_version:
      - 2
      - 0
    .max_flat_workgroup_size: 256
    .name:           _ZL26rocblas_haxpy_mod_8_kernelILi256EdPKPKdPKPdEviT0_lT1_llT2_lli
    .private_segment_fixed_size: 0
    .sgpr_count:     18
    .sgpr_spill_count: 0
    .symbol:         _ZL26rocblas_haxpy_mod_8_kernelILi256EdPKPKdPKPdEviT0_lT1_llT2_lli.kd
    .uniform_work_group_size: 1
    .uses_dynamic_stack: false
    .vgpr_count:     6
    .vgpr_spill_count: 0
    .wavefront_size: 32
    .workgroup_processor_mode: 1
  - .args:
      - .offset:         0
        .size:           4
        .value_kind:     by_value
      - .address_space:  global
        .offset:         8
        .size:           8
        .value_kind:     global_buffer
      - .offset:         16
        .size:           8
        .value_kind:     by_value
      - .actual_access:  read_only
        .address_space:  global
        .offset:         24
        .size:           8
        .value_kind:     global_buffer
      - .offset:         32
        .size:           8
        .value_kind:     by_value
      - .offset:         40
        .size:           8
        .value_kind:     by_value
      - .actual_access:  read_only
        .address_space:  global
        .offset:         48
        .size:           8
        .value_kind:     global_buffer
      - .offset:         56
        .size:           8
        .value_kind:     by_value
      - .offset:         64
        .size:           8
        .value_kind:     by_value
      - .offset:         72
        .size:           4
        .value_kind:     by_value
    .group_segment_fixed_size: 0
    .kernarg_segment_align: 8
    .kernarg_segment_size: 76
    .language:       OpenCL C
    .language_version:
      - 2
      - 0
    .max_flat_workgroup_size: 256
    .name:           _ZL22rocblas_saxpy_2_kernelILi256EdPKdPKS1_PKPdEviT1_lT2_llT3_lli
    .private_segment_fixed_size: 0
    .sgpr_count:     22
    .sgpr_spill_count: 0
    .symbol:         _ZL22rocblas_saxpy_2_kernelILi256EdPKdPKS1_PKPdEviT1_lT2_llT3_lli.kd
    .uniform_work_group_size: 1
    .uses_dynamic_stack: false
    .vgpr_count:     14
    .vgpr_spill_count: 0
    .wavefront_size: 32
    .workgroup_processor_mode: 1
  - .args:
      - .offset:         0
        .size:           4
        .value_kind:     by_value
      - .offset:         8
        .size:           8
        .value_kind:     by_value
      - .offset:         16
        .size:           8
        .value_kind:     by_value
      - .actual_access:  read_only
        .address_space:  global
        .offset:         24
        .size:           8
        .value_kind:     global_buffer
      - .offset:         32
        .size:           8
        .value_kind:     by_value
      - .offset:         40
        .size:           8
        .value_kind:     by_value
      - .actual_access:  read_only
        .address_space:  global
        .offset:         48
        .size:           8
        .value_kind:     global_buffer
      - .offset:         56
        .size:           8
        .value_kind:     by_value
      - .offset:         64
        .size:           8
        .value_kind:     by_value
      - .offset:         72
        .size:           4
        .value_kind:     by_value
    .group_segment_fixed_size: 0
    .kernarg_segment_align: 8
    .kernarg_segment_size: 76
    .language:       OpenCL C
    .language_version:
      - 2
      - 0
    .max_flat_workgroup_size: 256
    .name:           _ZL22rocblas_saxpy_2_kernelILi256EddPKPKdPKPdEviT1_lT2_llT3_lli
    .private_segment_fixed_size: 0
    .sgpr_count:     22
    .sgpr_spill_count: 0
    .symbol:         _ZL22rocblas_saxpy_2_kernelILi256EddPKPKdPKPdEviT1_lT2_llT3_lli.kd
    .uniform_work_group_size: 1
    .uses_dynamic_stack: false
    .vgpr_count:     14
    .vgpr_spill_count: 0
    .wavefront_size: 32
    .workgroup_processor_mode: 1
  - .args:
      - .offset:         0
        .size:           4
        .value_kind:     by_value
      - .address_space:  global
        .offset:         8
        .size:           8
        .value_kind:     global_buffer
      - .offset:         16
        .size:           8
        .value_kind:     by_value
      - .address_space:  global
        .offset:         24
        .size:           8
        .value_kind:     global_buffer
      - .offset:         32
        .size:           8
        .value_kind:     by_value
      - .offset:         40
        .size:           4
        .value_kind:     by_value
      - .offset:         48
        .size:           8
        .value_kind:     by_value
      - .address_space:  global
        .offset:         56
        .size:           8
        .value_kind:     global_buffer
      - .offset:         64
        .size:           8
        .value_kind:     by_value
      - .offset:         72
        .size:           4
        .value_kind:     by_value
      - .offset:         80
        .size:           8
        .value_kind:     by_value
      - .offset:         88
        .size:           4
        .value_kind:     by_value
    .group_segment_fixed_size: 0
    .kernarg_segment_align: 8
    .kernarg_segment_size: 92
    .language:       OpenCL C
    .language_version:
      - 2
      - 0
    .max_flat_workgroup_size: 1024
    .name:           _ZL27rocblas_axpy_kernel_batchedIiLi128ELi8EdPKdPKS1_PKPdEviT3_lT4_lT_lT5_lS9_li
    .private_segment_fixed_size: 0
    .sgpr_count:     20
    .sgpr_spill_count: 0
    .symbol:         _ZL27rocblas_axpy_kernel_batchedIiLi128ELi8EdPKdPKS1_PKPdEviT3_lT4_lT_lT5_lS9_li.kd
    .uniform_work_group_size: 1
    .uses_dynamic_stack: false
    .vgpr_count:     17
    .vgpr_spill_count: 0
    .wavefront_size: 32
    .workgroup_processor_mode: 1
  - .args:
      - .offset:         0
        .size:           4
        .value_kind:     by_value
      - .offset:         8
        .size:           8
        .value_kind:     by_value
      - .offset:         16
        .size:           8
        .value_kind:     by_value
      - .address_space:  global
        .offset:         24
        .size:           8
        .value_kind:     global_buffer
      - .offset:         32
        .size:           8
        .value_kind:     by_value
      - .offset:         40
        .size:           4
        .value_kind:     by_value
      - .offset:         48
        .size:           8
        .value_kind:     by_value
      - .address_space:  global
        .offset:         56
        .size:           8
        .value_kind:     global_buffer
      - .offset:         64
        .size:           8
        .value_kind:     by_value
      - .offset:         72
        .size:           4
        .value_kind:     by_value
      - .offset:         80
        .size:           8
        .value_kind:     by_value
      - .offset:         88
        .size:           4
        .value_kind:     by_value
    .group_segment_fixed_size: 0
    .kernarg_segment_align: 8
    .kernarg_segment_size: 92
    .language:       OpenCL C
    .language_version:
      - 2
      - 0
    .max_flat_workgroup_size: 1024
    .name:           _ZL27rocblas_axpy_kernel_batchedIiLi128ELi8EddPKPKdPKPdEviT3_lT4_lT_lT5_lS9_li
    .private_segment_fixed_size: 0
    .sgpr_count:     20
    .sgpr_spill_count: 0
    .symbol:         _ZL27rocblas_axpy_kernel_batchedIiLi128ELi8EddPKPKdPKPdEviT3_lT4_lT_lT5_lS9_li.kd
    .uniform_work_group_size: 1
    .uses_dynamic_stack: false
    .vgpr_count:     11
    .vgpr_spill_count: 0
    .wavefront_size: 32
    .workgroup_processor_mode: 1
  - .args:
      - .offset:         0
        .size:           4
        .value_kind:     by_value
      - .address_space:  global
        .offset:         8
        .size:           8
        .value_kind:     global_buffer
      - .offset:         16
        .size:           8
        .value_kind:     by_value
      - .actual_access:  read_only
        .address_space:  global
        .offset:         24
        .size:           8
        .value_kind:     global_buffer
      - .offset:         32
        .size:           8
        .value_kind:     by_value
      - .offset:         40
        .size:           4
        .value_kind:     by_value
      - .offset:         48
        .size:           8
        .value_kind:     by_value
      - .actual_access:  read_only
        .address_space:  global
        .offset:         56
        .size:           8
        .value_kind:     global_buffer
      - .offset:         64
        .size:           8
        .value_kind:     by_value
      - .offset:         72
        .size:           4
        .value_kind:     by_value
      - .offset:         80
        .size:           8
        .value_kind:     by_value
      - .offset:         88
        .size:           4
        .value_kind:     by_value
    .group_segment_fixed_size: 0
    .kernarg_segment_align: 8
    .kernarg_segment_size: 92
    .language:       OpenCL C
    .language_version:
      - 2
      - 0
    .max_flat_workgroup_size: 256
    .name:           _ZL19rocblas_axpy_kernelIiLi256EdPKdPKS1_PKPdEviT2_lT3_lT_lT4_lS9_li
    .private_segment_fixed_size: 0
    .sgpr_count:     20
    .sgpr_spill_count: 0
    .symbol:         _ZL19rocblas_axpy_kernelIiLi256EdPKdPKS1_PKPdEviT2_lT3_lT_lT4_lS9_li.kd
    .uniform_work_group_size: 1
    .uses_dynamic_stack: false
    .vgpr_count:     8
    .vgpr_spill_count: 0
    .wavefront_size: 32
    .workgroup_processor_mode: 1
  - .args:
      - .offset:         0
        .size:           4
        .value_kind:     by_value
      - .offset:         8
        .size:           8
        .value_kind:     by_value
      - .offset:         16
        .size:           8
        .value_kind:     by_value
      - .actual_access:  read_only
        .address_space:  global
        .offset:         24
        .size:           8
        .value_kind:     global_buffer
      - .offset:         32
        .size:           8
        .value_kind:     by_value
      - .offset:         40
        .size:           4
        .value_kind:     by_value
      - .offset:         48
        .size:           8
        .value_kind:     by_value
      - .actual_access:  read_only
        .address_space:  global
        .offset:         56
        .size:           8
        .value_kind:     global_buffer
      - .offset:         64
        .size:           8
        .value_kind:     by_value
      - .offset:         72
        .size:           4
        .value_kind:     by_value
      - .offset:         80
        .size:           8
        .value_kind:     by_value
      - .offset:         88
        .size:           4
        .value_kind:     by_value
    .group_segment_fixed_size: 0
    .kernarg_segment_align: 8
    .kernarg_segment_size: 92
    .language:       OpenCL C
    .language_version:
      - 2
      - 0
    .max_flat_workgroup_size: 256
    .name:           _ZL19rocblas_axpy_kernelIiLi256EddPKPKdPKPdEviT2_lT3_lT_lT4_lS9_li
    .private_segment_fixed_size: 0
    .sgpr_count:     20
    .sgpr_spill_count: 0
    .symbol:         _ZL19rocblas_axpy_kernelIiLi256EddPKPKdPKPdEviT2_lT3_lT_lT4_lS9_li.kd
    .uniform_work_group_size: 1
    .uses_dynamic_stack: false
    .vgpr_count:     8
    .vgpr_spill_count: 0
    .wavefront_size: 32
    .workgroup_processor_mode: 1
  - .args:
      - .offset:         0
        .size:           4
        .value_kind:     by_value
      - .address_space:  global
        .offset:         8
        .size:           8
        .value_kind:     global_buffer
      - .offset:         16
        .size:           8
        .value_kind:     by_value
      - .actual_access:  read_only
        .address_space:  global
        .offset:         24
        .size:           8
        .value_kind:     global_buffer
      - .offset:         32
        .size:           8
        .value_kind:     by_value
      - .offset:         40
        .size:           8
        .value_kind:     by_value
      - .offset:         48
        .size:           8
        .value_kind:     by_value
      - .actual_access:  read_only
        .address_space:  global
        .offset:         56
        .size:           8
        .value_kind:     global_buffer
      - .offset:         64
        .size:           8
        .value_kind:     by_value
      - .offset:         72
        .size:           8
        .value_kind:     by_value
      - .offset:         80
        .size:           8
        .value_kind:     by_value
      - .offset:         88
        .size:           4
        .value_kind:     by_value
    .group_segment_fixed_size: 0
    .kernarg_segment_align: 8
    .kernarg_segment_size: 92
    .language:       OpenCL C
    .language_version:
      - 2
      - 0
    .max_flat_workgroup_size: 256
    .name:           _ZL19rocblas_axpy_kernelIlLi256EdPKdPKS1_PKPdEviT2_lT3_lT_lT4_lS9_li
    .private_segment_fixed_size: 0
    .sgpr_count:     18
    .sgpr_spill_count: 0
    .symbol:         _ZL19rocblas_axpy_kernelIlLi256EdPKdPKS1_PKPdEviT2_lT3_lT_lT4_lS9_li.kd
    .uniform_work_group_size: 1
    .uses_dynamic_stack: false
    .vgpr_count:     8
    .vgpr_spill_count: 0
    .wavefront_size: 32
    .workgroup_processor_mode: 1
  - .args:
      - .offset:         0
        .size:           4
        .value_kind:     by_value
      - .offset:         8
        .size:           8
        .value_kind:     by_value
      - .offset:         16
        .size:           8
        .value_kind:     by_value
      - .actual_access:  read_only
        .address_space:  global
        .offset:         24
        .size:           8
        .value_kind:     global_buffer
      - .offset:         32
        .size:           8
        .value_kind:     by_value
      - .offset:         40
        .size:           8
        .value_kind:     by_value
      - .offset:         48
        .size:           8
        .value_kind:     by_value
      - .actual_access:  read_only
        .address_space:  global
        .offset:         56
        .size:           8
        .value_kind:     global_buffer
      - .offset:         64
        .size:           8
        .value_kind:     by_value
      - .offset:         72
        .size:           8
        .value_kind:     by_value
      - .offset:         80
        .size:           8
        .value_kind:     by_value
      - .offset:         88
        .size:           4
        .value_kind:     by_value
    .group_segment_fixed_size: 0
    .kernarg_segment_align: 8
    .kernarg_segment_size: 92
    .language:       OpenCL C
    .language_version:
      - 2
      - 0
    .max_flat_workgroup_size: 256
    .name:           _ZL19rocblas_axpy_kernelIlLi256EddPKPKdPKPdEviT2_lT3_lT_lT4_lS9_li
    .private_segment_fixed_size: 0
    .sgpr_count:     18
    .sgpr_spill_count: 0
    .symbol:         _ZL19rocblas_axpy_kernelIlLi256EddPKPKdPKPdEviT2_lT3_lT_lT4_lS9_li.kd
    .uniform_work_group_size: 1
    .uses_dynamic_stack: false
    .vgpr_count:     8
    .vgpr_spill_count: 0
    .wavefront_size: 32
    .workgroup_processor_mode: 1
  - .args:
      - .offset:         0
        .size:           4
        .value_kind:     by_value
      - .address_space:  global
        .offset:         8
        .size:           8
        .value_kind:     global_buffer
      - .offset:         16
        .size:           8
        .value_kind:     by_value
      - .address_space:  global
        .offset:         24
        .size:           8
        .value_kind:     global_buffer
      - .offset:         32
        .size:           8
        .value_kind:     by_value
      - .offset:         40
        .size:           8
        .value_kind:     by_value
      - .address_space:  global
        .offset:         48
        .size:           8
        .value_kind:     global_buffer
      - .offset:         56
        .size:           8
        .value_kind:     by_value
      - .offset:         64
        .size:           8
        .value_kind:     by_value
      - .offset:         72
        .size:           4
        .value_kind:     by_value
    .group_segment_fixed_size: 0
    .kernarg_segment_align: 8
    .kernarg_segment_size: 76
    .language:       OpenCL C
    .language_version:
      - 2
      - 0
    .max_flat_workgroup_size: 256
    .name:           _ZL26rocblas_haxpy_mlt_8_kernelILi256EPKDF16_PKPK19rocblas_complex_numIfEPKPS3_EviT0_lT1_llT2_lli
    .private_segment_fixed_size: 0
    .sgpr_count:     18
    .sgpr_spill_count: 0
    .symbol:         _ZL26rocblas_haxpy_mlt_8_kernelILi256EPKDF16_PKPK19rocblas_complex_numIfEPKPS3_EviT0_lT1_llT2_lli.kd
    .uniform_work_group_size: 1
    .uses_dynamic_stack: false
    .vgpr_count:     11
    .vgpr_spill_count: 0
    .wavefront_size: 32
    .workgroup_processor_mode: 1
  - .args:
      - .offset:         0
        .size:           4
        .value_kind:     by_value
      - .address_space:  global
        .offset:         8
        .size:           8
        .value_kind:     global_buffer
      - .offset:         16
        .size:           8
        .value_kind:     by_value
      - .address_space:  global
        .offset:         24
        .size:           8
        .value_kind:     global_buffer
      - .offset:         32
        .size:           8
        .value_kind:     by_value
      - .offset:         40
        .size:           8
        .value_kind:     by_value
      - .address_space:  global
        .offset:         48
        .size:           8
        .value_kind:     global_buffer
      - .offset:         56
        .size:           8
        .value_kind:     by_value
      - .offset:         64
        .size:           8
        .value_kind:     by_value
      - .offset:         72
        .size:           4
        .value_kind:     by_value
    .group_segment_fixed_size: 0
    .kernarg_segment_align: 8
    .kernarg_segment_size: 76
    .language:       OpenCL C
    .language_version:
      - 2
      - 0
    .max_flat_workgroup_size: 256
    .name:           _ZL26rocblas_haxpy_mod_8_kernelILi256EPK19rocblas_complex_numIfEPKS3_PKPS1_EviT0_lT1_llT2_lli
    .private_segment_fixed_size: 0
    .sgpr_count:     20
    .sgpr_spill_count: 0
    .symbol:         _ZL26rocblas_haxpy_mod_8_kernelILi256EPK19rocblas_complex_numIfEPKS3_PKPS1_EviT0_lT1_llT2_lli.kd
    .uniform_work_group_size: 1
    .uses_dynamic_stack: false
    .vgpr_count:     7
    .vgpr_spill_count: 0
    .wavefront_size: 32
    .workgroup_processor_mode: 1
  - .args:
      - .offset:         0
        .size:           4
        .value_kind:     by_value
      - .offset:         4
        .size:           2
        .value_kind:     by_value
      - .offset:         8
        .size:           8
        .value_kind:     by_value
      - .address_space:  global
        .offset:         16
        .size:           8
        .value_kind:     global_buffer
      - .offset:         24
        .size:           8
        .value_kind:     by_value
      - .offset:         32
        .size:           8
        .value_kind:     by_value
      - .address_space:  global
        .offset:         40
        .size:           8
        .value_kind:     global_buffer
      - .offset:         48
        .size:           8
        .value_kind:     by_value
      - .offset:         56
        .size:           8
        .value_kind:     by_value
      - .offset:         64
        .size:           4
        .value_kind:     by_value
    .group_segment_fixed_size: 0
    .kernarg_segment_align: 8
    .kernarg_segment_size: 68
    .language:       OpenCL C
    .language_version:
      - 2
      - 0
    .max_flat_workgroup_size: 256
    .name:           _ZL26rocblas_haxpy_mlt_8_kernelILi256EDF16_PKPK19rocblas_complex_numIfEPKPS1_EviT0_lT1_llT2_lli
    .private_segment_fixed_size: 0
    .sgpr_count:     18
    .sgpr_spill_count: 0
    .symbol:         _ZL26rocblas_haxpy_mlt_8_kernelILi256EDF16_PKPK19rocblas_complex_numIfEPKPS1_EviT0_lT1_llT2_lli.kd
    .uniform_work_group_size: 1
    .uses_dynamic_stack: false
    .vgpr_count:     10
    .vgpr_spill_count: 0
    .wavefront_size: 32
    .workgroup_processor_mode: 1
  - .args:
      - .offset:         0
        .size:           4
        .value_kind:     by_value
      - .offset:         4
        .size:           8
        .value_kind:     by_value
      - .offset:         16
        .size:           8
        .value_kind:     by_value
      - .address_space:  global
        .offset:         24
        .size:           8
        .value_kind:     global_buffer
      - .offset:         32
        .size:           8
        .value_kind:     by_value
      - .offset:         40
        .size:           8
        .value_kind:     by_value
      - .address_space:  global
        .offset:         48
        .size:           8
        .value_kind:     global_buffer
      - .offset:         56
        .size:           8
        .value_kind:     by_value
      - .offset:         64
        .size:           8
        .value_kind:     by_value
      - .offset:         72
        .size:           4
        .value_kind:     by_value
    .group_segment_fixed_size: 0
    .kernarg_segment_align: 8
    .kernarg_segment_size: 76
    .language:       OpenCL C
    .language_version:
      - 2
      - 0
    .max_flat_workgroup_size: 256
    .name:           _ZL26rocblas_haxpy_mod_8_kernelILi256E19rocblas_complex_numIfEPKPKS1_PKPS1_EviT0_lT1_llT2_lli
    .private_segment_fixed_size: 0
    .sgpr_count:     18
    .sgpr_spill_count: 0
    .symbol:         _ZL26rocblas_haxpy_mod_8_kernelILi256E19rocblas_complex_numIfEPKPKS1_PKPS1_EviT0_lT1_llT2_lli.kd
    .uniform_work_group_size: 1
    .uses_dynamic_stack: false
    .vgpr_count:     7
    .vgpr_spill_count: 0
    .wavefront_size: 32
    .workgroup_processor_mode: 1
  - .args:
      - .offset:         0
        .size:           4
        .value_kind:     by_value
      - .address_space:  global
        .offset:         8
        .size:           8
        .value_kind:     global_buffer
      - .offset:         16
        .size:           8
        .value_kind:     by_value
      - .actual_access:  read_only
        .address_space:  global
        .offset:         24
        .size:           8
        .value_kind:     global_buffer
      - .offset:         32
        .size:           8
        .value_kind:     by_value
      - .offset:         40
        .size:           8
        .value_kind:     by_value
      - .actual_access:  read_only
        .address_space:  global
        .offset:         48
        .size:           8
        .value_kind:     global_buffer
      - .offset:         56
        .size:           8
        .value_kind:     by_value
      - .offset:         64
        .size:           8
        .value_kind:     by_value
      - .offset:         72
        .size:           4
        .value_kind:     by_value
    .group_segment_fixed_size: 0
    .kernarg_segment_align: 8
    .kernarg_segment_size: 76
    .language:       OpenCL C
    .language_version:
      - 2
      - 0
    .max_flat_workgroup_size: 256
    .name:           _ZL22rocblas_saxpy_2_kernelILi256E19rocblas_complex_numIfEPKS1_PKS3_PKPS1_EviT1_lT2_llT3_lli
    .private_segment_fixed_size: 0
    .sgpr_count:     22
    .sgpr_spill_count: 0
    .symbol:         _ZL22rocblas_saxpy_2_kernelILi256E19rocblas_complex_numIfEPKS1_PKS3_PKPS1_EviT1_lT2_llT3_lli.kd
    .uniform_work_group_size: 1
    .uses_dynamic_stack: false
    .vgpr_count:     15
    .vgpr_spill_count: 0
    .wavefront_size: 32
    .workgroup_processor_mode: 1
  - .args:
      - .offset:         0
        .size:           4
        .value_kind:     by_value
      - .offset:         4
        .size:           8
        .value_kind:     by_value
      - .offset:         16
        .size:           8
        .value_kind:     by_value
      - .actual_access:  read_only
        .address_space:  global
        .offset:         24
        .size:           8
        .value_kind:     global_buffer
      - .offset:         32
        .size:           8
        .value_kind:     by_value
      - .offset:         40
        .size:           8
        .value_kind:     by_value
      - .actual_access:  read_only
        .address_space:  global
        .offset:         48
        .size:           8
        .value_kind:     global_buffer
      - .offset:         56
        .size:           8
        .value_kind:     by_value
      - .offset:         64
        .size:           8
        .value_kind:     by_value
      - .offset:         72
        .size:           4
        .value_kind:     by_value
    .group_segment_fixed_size: 0
    .kernarg_segment_align: 8
    .kernarg_segment_size: 76
    .language:       OpenCL C
    .language_version:
      - 2
      - 0
    .max_flat_workgroup_size: 256
    .name:           _ZL22rocblas_saxpy_2_kernelILi256E19rocblas_complex_numIfES1_PKPKS1_PKPS1_EviT1_lT2_llT3_lli
    .private_segment_fixed_size: 0
    .sgpr_count:     22
    .sgpr_spill_count: 0
    .symbol:         _ZL22rocblas_saxpy_2_kernelILi256E19rocblas_complex_numIfES1_PKPKS1_PKPS1_EviT1_lT2_llT3_lli.kd
    .uniform_work_group_size: 1
    .uses_dynamic_stack: false
    .vgpr_count:     15
    .vgpr_spill_count: 0
    .wavefront_size: 32
    .workgroup_processor_mode: 1
  - .args:
      - .offset:         0
        .size:           4
        .value_kind:     by_value
      - .address_space:  global
        .offset:         8
        .size:           8
        .value_kind:     global_buffer
      - .offset:         16
        .size:           8
        .value_kind:     by_value
      - .address_space:  global
        .offset:         24
        .size:           8
        .value_kind:     global_buffer
      - .offset:         32
        .size:           8
        .value_kind:     by_value
      - .offset:         40
        .size:           4
        .value_kind:     by_value
      - .offset:         48
        .size:           8
        .value_kind:     by_value
      - .address_space:  global
        .offset:         56
        .size:           8
        .value_kind:     global_buffer
      - .offset:         64
        .size:           8
        .value_kind:     by_value
      - .offset:         72
        .size:           4
        .value_kind:     by_value
      - .offset:         80
        .size:           8
        .value_kind:     by_value
      - .offset:         88
        .size:           4
        .value_kind:     by_value
    .group_segment_fixed_size: 0
    .kernarg_segment_align: 8
    .kernarg_segment_size: 92
    .language:       OpenCL C
    .language_version:
      - 2
      - 0
    .max_flat_workgroup_size: 1024
    .name:           _ZL27rocblas_axpy_kernel_batchedIiLi128ELi8E19rocblas_complex_numIfEPKS1_PKS3_PKPS1_EviT3_lT4_lT_lT5_lSB_li
    .private_segment_fixed_size: 0
    .sgpr_count:     18
    .sgpr_spill_count: 0
    .symbol:         _ZL27rocblas_axpy_kernel_batchedIiLi128ELi8E19rocblas_complex_numIfEPKS1_PKS3_PKPS1_EviT3_lT4_lT_lT5_lSB_li.kd
    .uniform_work_group_size: 1
    .uses_dynamic_stack: false
    .vgpr_count:     15
    .vgpr_spill_count: 0
    .wavefront_size: 32
    .workgroup_processor_mode: 1
  - .args:
      - .offset:         0
        .size:           4
        .value_kind:     by_value
      - .offset:         4
        .size:           8
        .value_kind:     by_value
      - .offset:         16
        .size:           8
        .value_kind:     by_value
      - .address_space:  global
        .offset:         24
        .size:           8
        .value_kind:     global_buffer
      - .offset:         32
        .size:           8
        .value_kind:     by_value
      - .offset:         40
        .size:           4
        .value_kind:     by_value
      - .offset:         48
        .size:           8
        .value_kind:     by_value
      - .address_space:  global
        .offset:         56
        .size:           8
        .value_kind:     global_buffer
      - .offset:         64
        .size:           8
        .value_kind:     by_value
      - .offset:         72
        .size:           4
        .value_kind:     by_value
      - .offset:         80
        .size:           8
        .value_kind:     by_value
      - .offset:         88
        .size:           4
        .value_kind:     by_value
    .group_segment_fixed_size: 0
    .kernarg_segment_align: 8
    .kernarg_segment_size: 92
    .language:       OpenCL C
    .language_version:
      - 2
      - 0
    .max_flat_workgroup_size: 1024
    .name:           _ZL27rocblas_axpy_kernel_batchedIiLi128ELi8E19rocblas_complex_numIfES1_PKPKS1_PKPS1_EviT3_lT4_lT_lT5_lSB_li
    .private_segment_fixed_size: 0
    .sgpr_count:     18
    .sgpr_spill_count: 0
    .symbol:         _ZL27rocblas_axpy_kernel_batchedIiLi128ELi8E19rocblas_complex_numIfES1_PKPKS1_PKPS1_EviT3_lT4_lT_lT5_lSB_li.kd
    .uniform_work_group_size: 1
    .uses_dynamic_stack: false
    .vgpr_count:     12
    .vgpr_spill_count: 0
    .wavefront_size: 32
    .workgroup_processor_mode: 1
  - .args:
      - .offset:         0
        .size:           4
        .value_kind:     by_value
      - .address_space:  global
        .offset:         8
        .size:           8
        .value_kind:     global_buffer
      - .offset:         16
        .size:           8
        .value_kind:     by_value
      - .actual_access:  read_only
        .address_space:  global
        .offset:         24
        .size:           8
        .value_kind:     global_buffer
      - .offset:         32
        .size:           8
        .value_kind:     by_value
      - .offset:         40
        .size:           4
        .value_kind:     by_value
      - .offset:         48
        .size:           8
        .value_kind:     by_value
      - .actual_access:  read_only
        .address_space:  global
        .offset:         56
        .size:           8
        .value_kind:     global_buffer
      - .offset:         64
        .size:           8
        .value_kind:     by_value
      - .offset:         72
        .size:           4
        .value_kind:     by_value
      - .offset:         80
        .size:           8
        .value_kind:     by_value
      - .offset:         88
        .size:           4
        .value_kind:     by_value
    .group_segment_fixed_size: 0
    .kernarg_segment_align: 8
    .kernarg_segment_size: 92
    .language:       OpenCL C
    .language_version:
      - 2
      - 0
    .max_flat_workgroup_size: 256
    .name:           _ZL19rocblas_axpy_kernelIiLi256E19rocblas_complex_numIfEPKS1_PKS3_PKPS1_EviT2_lT3_lT_lT4_lSB_li
    .private_segment_fixed_size: 0
    .sgpr_count:     20
    .sgpr_spill_count: 0
    .symbol:         _ZL19rocblas_axpy_kernelIiLi256E19rocblas_complex_numIfEPKS1_PKS3_PKPS1_EviT2_lT3_lT_lT4_lSB_li.kd
    .uniform_work_group_size: 1
    .uses_dynamic_stack: false
    .vgpr_count:     7
    .vgpr_spill_count: 0
    .wavefront_size: 32
    .workgroup_processor_mode: 1
  - .args:
      - .offset:         0
        .size:           4
        .value_kind:     by_value
      - .offset:         4
        .size:           8
        .value_kind:     by_value
      - .offset:         16
        .size:           8
        .value_kind:     by_value
      - .actual_access:  read_only
        .address_space:  global
        .offset:         24
        .size:           8
        .value_kind:     global_buffer
      - .offset:         32
        .size:           8
        .value_kind:     by_value
      - .offset:         40
        .size:           4
        .value_kind:     by_value
      - .offset:         48
        .size:           8
        .value_kind:     by_value
      - .actual_access:  read_only
        .address_space:  global
        .offset:         56
        .size:           8
        .value_kind:     global_buffer
      - .offset:         64
        .size:           8
        .value_kind:     by_value
      - .offset:         72
        .size:           4
        .value_kind:     by_value
      - .offset:         80
        .size:           8
        .value_kind:     by_value
      - .offset:         88
        .size:           4
        .value_kind:     by_value
    .group_segment_fixed_size: 0
    .kernarg_segment_align: 8
    .kernarg_segment_size: 92
    .language:       OpenCL C
    .language_version:
      - 2
      - 0
    .max_flat_workgroup_size: 256
    .name:           _ZL19rocblas_axpy_kernelIiLi256E19rocblas_complex_numIfES1_PKPKS1_PKPS1_EviT2_lT3_lT_lT4_lSB_li
    .private_segment_fixed_size: 0
    .sgpr_count:     18
    .sgpr_spill_count: 0
    .symbol:         _ZL19rocblas_axpy_kernelIiLi256E19rocblas_complex_numIfES1_PKPKS1_PKPS1_EviT2_lT3_lT_lT4_lSB_li.kd
    .uniform_work_group_size: 1
    .uses_dynamic_stack: false
    .vgpr_count:     7
    .vgpr_spill_count: 0
    .wavefront_size: 32
    .workgroup_processor_mode: 1
  - .args:
      - .offset:         0
        .size:           4
        .value_kind:     by_value
      - .address_space:  global
        .offset:         8
        .size:           8
        .value_kind:     global_buffer
      - .offset:         16
        .size:           8
        .value_kind:     by_value
      - .actual_access:  read_only
        .address_space:  global
        .offset:         24
        .size:           8
        .value_kind:     global_buffer
      - .offset:         32
        .size:           8
        .value_kind:     by_value
      - .offset:         40
        .size:           8
        .value_kind:     by_value
      - .offset:         48
        .size:           8
        .value_kind:     by_value
      - .actual_access:  read_only
        .address_space:  global
        .offset:         56
        .size:           8
        .value_kind:     global_buffer
      - .offset:         64
        .size:           8
        .value_kind:     by_value
      - .offset:         72
        .size:           8
        .value_kind:     by_value
      - .offset:         80
        .size:           8
        .value_kind:     by_value
      - .offset:         88
        .size:           4
        .value_kind:     by_value
    .group_segment_fixed_size: 0
    .kernarg_segment_align: 8
    .kernarg_segment_size: 92
    .language:       OpenCL C
    .language_version:
      - 2
      - 0
    .max_flat_workgroup_size: 256
    .name:           _ZL19rocblas_axpy_kernelIlLi256E19rocblas_complex_numIfEPKS1_PKS3_PKPS1_EviT2_lT3_lT_lT4_lSB_li
    .private_segment_fixed_size: 0
    .sgpr_count:     18
    .sgpr_spill_count: 0
    .symbol:         _ZL19rocblas_axpy_kernelIlLi256E19rocblas_complex_numIfEPKS1_PKS3_PKPS1_EviT2_lT3_lT_lT4_lSB_li.kd
    .uniform_work_group_size: 1
    .uses_dynamic_stack: false
    .vgpr_count:     7
    .vgpr_spill_count: 0
    .wavefront_size: 32
    .workgroup_processor_mode: 1
  - .args:
      - .offset:         0
        .size:           4
        .value_kind:     by_value
      - .offset:         4
        .size:           8
        .value_kind:     by_value
      - .offset:         16
        .size:           8
        .value_kind:     by_value
      - .actual_access:  read_only
        .address_space:  global
        .offset:         24
        .size:           8
        .value_kind:     global_buffer
      - .offset:         32
        .size:           8
        .value_kind:     by_value
      - .offset:         40
        .size:           8
        .value_kind:     by_value
      - .offset:         48
        .size:           8
        .value_kind:     by_value
      - .actual_access:  read_only
        .address_space:  global
        .offset:         56
        .size:           8
        .value_kind:     global_buffer
      - .offset:         64
        .size:           8
        .value_kind:     by_value
      - .offset:         72
        .size:           8
        .value_kind:     by_value
      - .offset:         80
        .size:           8
        .value_kind:     by_value
      - .offset:         88
        .size:           4
        .value_kind:     by_value
    .group_segment_fixed_size: 0
    .kernarg_segment_align: 8
    .kernarg_segment_size: 92
    .language:       OpenCL C
    .language_version:
      - 2
      - 0
    .max_flat_workgroup_size: 256
    .name:           _ZL19rocblas_axpy_kernelIlLi256E19rocblas_complex_numIfES1_PKPKS1_PKPS1_EviT2_lT3_lT_lT4_lSB_li
    .private_segment_fixed_size: 0
    .sgpr_count:     20
    .sgpr_spill_count: 0
    .symbol:         _ZL19rocblas_axpy_kernelIlLi256E19rocblas_complex_numIfES1_PKPKS1_PKPS1_EviT2_lT3_lT_lT4_lSB_li.kd
    .uniform_work_group_size: 1
    .uses_dynamic_stack: false
    .vgpr_count:     7
    .vgpr_spill_count: 0
    .wavefront_size: 32
    .workgroup_processor_mode: 1
  - .args:
      - .offset:         0
        .size:           4
        .value_kind:     by_value
      - .address_space:  global
        .offset:         8
        .size:           8
        .value_kind:     global_buffer
      - .offset:         16
        .size:           8
        .value_kind:     by_value
      - .address_space:  global
        .offset:         24
        .size:           8
        .value_kind:     global_buffer
      - .offset:         32
        .size:           8
        .value_kind:     by_value
      - .offset:         40
        .size:           8
        .value_kind:     by_value
      - .address_space:  global
        .offset:         48
        .size:           8
        .value_kind:     global_buffer
      - .offset:         56
        .size:           8
        .value_kind:     by_value
      - .offset:         64
        .size:           8
        .value_kind:     by_value
      - .offset:         72
        .size:           4
        .value_kind:     by_value
    .group_segment_fixed_size: 0
    .kernarg_segment_align: 8
    .kernarg_segment_size: 76
    .language:       OpenCL C
    .language_version:
      - 2
      - 0
    .max_flat_workgroup_size: 256
    .name:           _ZL26rocblas_haxpy_mlt_8_kernelILi256EPKDF16_PKPK19rocblas_complex_numIdEPKPS3_EviT0_lT1_llT2_lli
    .private_segment_fixed_size: 0
    .sgpr_count:     18
    .sgpr_spill_count: 0
    .symbol:         _ZL26rocblas_haxpy_mlt_8_kernelILi256EPKDF16_PKPK19rocblas_complex_numIdEPKPS3_EviT0_lT1_llT2_lli.kd
    .uniform_work_group_size: 1
    .uses_dynamic_stack: false
    .vgpr_count:     11
    .vgpr_spill_count: 0
    .wavefront_size: 32
    .workgroup_processor_mode: 1
  - .args:
      - .offset:         0
        .size:           4
        .value_kind:     by_value
      - .address_space:  global
        .offset:         8
        .size:           8
        .value_kind:     global_buffer
      - .offset:         16
        .size:           8
        .value_kind:     by_value
      - .address_space:  global
        .offset:         24
        .size:           8
        .value_kind:     global_buffer
      - .offset:         32
        .size:           8
        .value_kind:     by_value
      - .offset:         40
        .size:           8
        .value_kind:     by_value
      - .address_space:  global
        .offset:         48
        .size:           8
        .value_kind:     global_buffer
      - .offset:         56
        .size:           8
        .value_kind:     by_value
      - .offset:         64
        .size:           8
        .value_kind:     by_value
      - .offset:         72
        .size:           4
        .value_kind:     by_value
    .group_segment_fixed_size: 0
    .kernarg_segment_align: 8
    .kernarg_segment_size: 76
    .language:       OpenCL C
    .language_version:
      - 2
      - 0
    .max_flat_workgroup_size: 256
    .name:           _ZL26rocblas_haxpy_mod_8_kernelILi256EPK19rocblas_complex_numIdEPKS3_PKPS1_EviT0_lT1_llT2_lli
    .private_segment_fixed_size: 0
    .sgpr_count:     18
    .sgpr_spill_count: 0
    .symbol:         _ZL26rocblas_haxpy_mod_8_kernelILi256EPK19rocblas_complex_numIdEPKS3_PKPS1_EviT0_lT1_llT2_lli.kd
    .uniform_work_group_size: 1
    .uses_dynamic_stack: false
    .vgpr_count:     12
    .vgpr_spill_count: 0
    .wavefront_size: 32
    .workgroup_processor_mode: 1
  - .args:
      - .offset:         0
        .size:           4
        .value_kind:     by_value
      - .offset:         4
        .size:           2
        .value_kind:     by_value
      - .offset:         8
        .size:           8
        .value_kind:     by_value
      - .address_space:  global
        .offset:         16
        .size:           8
        .value_kind:     global_buffer
      - .offset:         24
        .size:           8
        .value_kind:     by_value
      - .offset:         32
        .size:           8
        .value_kind:     by_value
      - .address_space:  global
        .offset:         40
        .size:           8
        .value_kind:     global_buffer
      - .offset:         48
        .size:           8
        .value_kind:     by_value
      - .offset:         56
        .size:           8
        .value_kind:     by_value
      - .offset:         64
        .size:           4
        .value_kind:     by_value
    .group_segment_fixed_size: 0
    .kernarg_segment_align: 8
    .kernarg_segment_size: 68
    .language:       OpenCL C
    .language_version:
      - 2
      - 0
    .max_flat_workgroup_size: 256
    .name:           _ZL26rocblas_haxpy_mlt_8_kernelILi256EDF16_PKPK19rocblas_complex_numIdEPKPS1_EviT0_lT1_llT2_lli
    .private_segment_fixed_size: 0
    .sgpr_count:     18
    .sgpr_spill_count: 0
    .symbol:         _ZL26rocblas_haxpy_mlt_8_kernelILi256EDF16_PKPK19rocblas_complex_numIdEPKPS1_EviT0_lT1_llT2_lli.kd
    .uniform_work_group_size: 1
    .uses_dynamic_stack: false
    .vgpr_count:     10
    .vgpr_spill_count: 0
    .wavefront_size: 32
    .workgroup_processor_mode: 1
  - .args:
      - .offset:         0
        .size:           4
        .value_kind:     by_value
      - .offset:         8
        .size:           16
        .value_kind:     by_value
      - .offset:         24
        .size:           8
        .value_kind:     by_value
      - .address_space:  global
        .offset:         32
        .size:           8
        .value_kind:     global_buffer
      - .offset:         40
        .size:           8
        .value_kind:     by_value
      - .offset:         48
        .size:           8
        .value_kind:     by_value
      - .address_space:  global
        .offset:         56
        .size:           8
        .value_kind:     global_buffer
      - .offset:         64
        .size:           8
        .value_kind:     by_value
      - .offset:         72
        .size:           8
        .value_kind:     by_value
      - .offset:         80
        .size:           4
        .value_kind:     by_value
    .group_segment_fixed_size: 0
    .kernarg_segment_align: 8
    .kernarg_segment_size: 84
    .language:       OpenCL C
    .language_version:
      - 2
      - 0
    .max_flat_workgroup_size: 256
    .name:           _ZL26rocblas_haxpy_mod_8_kernelILi256E19rocblas_complex_numIdEPKPKS1_PKPS1_EviT0_lT1_llT2_lli
    .private_segment_fixed_size: 0
    .sgpr_count:     18
    .sgpr_spill_count: 0
    .symbol:         _ZL26rocblas_haxpy_mod_8_kernelILi256E19rocblas_complex_numIdEPKPKS1_PKPS1_EviT0_lT1_llT2_lli.kd
    .uniform_work_group_size: 1
    .uses_dynamic_stack: false
    .vgpr_count:     12
    .vgpr_spill_count: 0
    .wavefront_size: 32
    .workgroup_processor_mode: 1
  - .args:
      - .offset:         0
        .size:           4
        .value_kind:     by_value
      - .address_space:  global
        .offset:         8
        .size:           8
        .value_kind:     global_buffer
      - .offset:         16
        .size:           8
        .value_kind:     by_value
      - .actual_access:  read_only
        .address_space:  global
        .offset:         24
        .size:           8
        .value_kind:     global_buffer
      - .offset:         32
        .size:           8
        .value_kind:     by_value
      - .offset:         40
        .size:           8
        .value_kind:     by_value
      - .actual_access:  read_only
        .address_space:  global
        .offset:         48
        .size:           8
        .value_kind:     global_buffer
      - .offset:         56
        .size:           8
        .value_kind:     by_value
      - .offset:         64
        .size:           8
        .value_kind:     by_value
      - .offset:         72
        .size:           4
        .value_kind:     by_value
    .group_segment_fixed_size: 0
    .kernarg_segment_align: 8
    .kernarg_segment_size: 76
    .language:       OpenCL C
    .language_version:
      - 2
      - 0
    .max_flat_workgroup_size: 256
    .name:           _ZL22rocblas_saxpy_2_kernelILi256E19rocblas_complex_numIdEPKS1_PKS3_PKPS1_EviT1_lT2_llT3_lli
    .private_segment_fixed_size: 0
    .sgpr_count:     26
    .sgpr_spill_count: 0
    .symbol:         _ZL22rocblas_saxpy_2_kernelILi256E19rocblas_complex_numIdEPKS1_PKS3_PKPS1_EviT1_lT2_llT3_lli.kd
    .uniform_work_group_size: 1
    .uses_dynamic_stack: false
    .vgpr_count:     18
    .vgpr_spill_count: 0
    .wavefront_size: 32
    .workgroup_processor_mode: 1
  - .args:
      - .offset:         0
        .size:           4
        .value_kind:     by_value
      - .offset:         8
        .size:           16
        .value_kind:     by_value
      - .offset:         24
        .size:           8
        .value_kind:     by_value
      - .actual_access:  read_only
        .address_space:  global
        .offset:         32
        .size:           8
        .value_kind:     global_buffer
      - .offset:         40
        .size:           8
        .value_kind:     by_value
      - .offset:         48
        .size:           8
        .value_kind:     by_value
      - .actual_access:  read_only
        .address_space:  global
        .offset:         56
        .size:           8
        .value_kind:     global_buffer
      - .offset:         64
        .size:           8
        .value_kind:     by_value
      - .offset:         72
        .size:           8
        .value_kind:     by_value
      - .offset:         80
        .size:           4
        .value_kind:     by_value
    .group_segment_fixed_size: 0
    .kernarg_segment_align: 8
    .kernarg_segment_size: 84
    .language:       OpenCL C
    .language_version:
      - 2
      - 0
    .max_flat_workgroup_size: 256
    .name:           _ZL22rocblas_saxpy_2_kernelILi256E19rocblas_complex_numIdES1_PKPKS1_PKPS1_EviT1_lT2_llT3_lli
    .private_segment_fixed_size: 0
    .sgpr_count:     26
    .sgpr_spill_count: 0
    .symbol:         _ZL22rocblas_saxpy_2_kernelILi256E19rocblas_complex_numIdES1_PKPKS1_PKPS1_EviT1_lT2_llT3_lli.kd
    .uniform_work_group_size: 1
    .uses_dynamic_stack: false
    .vgpr_count:     18
    .vgpr_spill_count: 0
    .wavefront_size: 32
    .workgroup_processor_mode: 1
  - .args:
      - .offset:         0
        .size:           4
        .value_kind:     by_value
      - .address_space:  global
        .offset:         8
        .size:           8
        .value_kind:     global_buffer
      - .offset:         16
        .size:           8
        .value_kind:     by_value
      - .address_space:  global
        .offset:         24
        .size:           8
        .value_kind:     global_buffer
      - .offset:         32
        .size:           8
        .value_kind:     by_value
      - .offset:         40
        .size:           4
        .value_kind:     by_value
      - .offset:         48
        .size:           8
        .value_kind:     by_value
      - .address_space:  global
        .offset:         56
        .size:           8
        .value_kind:     global_buffer
      - .offset:         64
        .size:           8
        .value_kind:     by_value
      - .offset:         72
        .size:           4
        .value_kind:     by_value
      - .offset:         80
        .size:           8
        .value_kind:     by_value
      - .offset:         88
        .size:           4
        .value_kind:     by_value
    .group_segment_fixed_size: 0
    .kernarg_segment_align: 8
    .kernarg_segment_size: 92
    .language:       OpenCL C
    .language_version:
      - 2
      - 0
    .max_flat_workgroup_size: 1024
    .name:           _ZL27rocblas_axpy_kernel_batchedIiLi128ELi8E19rocblas_complex_numIdEPKS1_PKS3_PKPS1_EviT3_lT4_lT_lT5_lSB_li
    .private_segment_fixed_size: 0
    .sgpr_count:     22
    .sgpr_spill_count: 0
    .symbol:         _ZL27rocblas_axpy_kernel_batchedIiLi128ELi8E19rocblas_complex_numIdEPKS1_PKS3_PKPS1_EviT3_lT4_lT_lT5_lSB_li.kd
    .uniform_work_group_size: 1
    .uses_dynamic_stack: false
    .vgpr_count:     21
    .vgpr_spill_count: 0
    .wavefront_size: 32
    .workgroup_processor_mode: 1
  - .args:
      - .offset:         0
        .size:           4
        .value_kind:     by_value
      - .offset:         8
        .size:           16
        .value_kind:     by_value
      - .offset:         24
        .size:           8
        .value_kind:     by_value
      - .address_space:  global
        .offset:         32
        .size:           8
        .value_kind:     global_buffer
      - .offset:         40
        .size:           8
        .value_kind:     by_value
      - .offset:         48
        .size:           4
        .value_kind:     by_value
      - .offset:         56
        .size:           8
        .value_kind:     by_value
      - .address_space:  global
        .offset:         64
        .size:           8
        .value_kind:     global_buffer
      - .offset:         72
        .size:           8
        .value_kind:     by_value
      - .offset:         80
        .size:           4
        .value_kind:     by_value
      - .offset:         88
        .size:           8
        .value_kind:     by_value
      - .offset:         96
        .size:           4
        .value_kind:     by_value
    .group_segment_fixed_size: 0
    .kernarg_segment_align: 8
    .kernarg_segment_size: 100
    .language:       OpenCL C
    .language_version:
      - 2
      - 0
    .max_flat_workgroup_size: 1024
    .name:           _ZL27rocblas_axpy_kernel_batchedIiLi128ELi8E19rocblas_complex_numIdES1_PKPKS1_PKPS1_EviT3_lT4_lT_lT5_lSB_li
    .private_segment_fixed_size: 0
    .sgpr_count:     22
    .sgpr_spill_count: 0
    .symbol:         _ZL27rocblas_axpy_kernel_batchedIiLi128ELi8E19rocblas_complex_numIdES1_PKPKS1_PKPS1_EviT3_lT4_lT_lT5_lSB_li.kd
    .uniform_work_group_size: 1
    .uses_dynamic_stack: false
    .vgpr_count:     17
    .vgpr_spill_count: 0
    .wavefront_size: 32
    .workgroup_processor_mode: 1
  - .args:
      - .offset:         0
        .size:           4
        .value_kind:     by_value
      - .address_space:  global
        .offset:         8
        .size:           8
        .value_kind:     global_buffer
      - .offset:         16
        .size:           8
        .value_kind:     by_value
      - .actual_access:  read_only
        .address_space:  global
        .offset:         24
        .size:           8
        .value_kind:     global_buffer
      - .offset:         32
        .size:           8
        .value_kind:     by_value
      - .offset:         40
        .size:           4
        .value_kind:     by_value
      - .offset:         48
        .size:           8
        .value_kind:     by_value
      - .actual_access:  read_only
        .address_space:  global
        .offset:         56
        .size:           8
        .value_kind:     global_buffer
      - .offset:         64
        .size:           8
        .value_kind:     by_value
      - .offset:         72
        .size:           4
        .value_kind:     by_value
      - .offset:         80
        .size:           8
        .value_kind:     by_value
      - .offset:         88
        .size:           4
        .value_kind:     by_value
    .group_segment_fixed_size: 0
    .kernarg_segment_align: 8
    .kernarg_segment_size: 92
    .language:       OpenCL C
    .language_version:
      - 2
      - 0
    .max_flat_workgroup_size: 256
    .name:           _ZL19rocblas_axpy_kernelIiLi256E19rocblas_complex_numIdEPKS1_PKS3_PKPS1_EviT2_lT3_lT_lT4_lSB_li
    .private_segment_fixed_size: 0
    .sgpr_count:     19
    .sgpr_spill_count: 0
    .symbol:         _ZL19rocblas_axpy_kernelIiLi256E19rocblas_complex_numIdEPKS1_PKS3_PKPS1_EviT2_lT3_lT_lT4_lSB_li.kd
    .uniform_work_group_size: 1
    .uses_dynamic_stack: false
    .vgpr_count:     13
    .vgpr_spill_count: 0
    .wavefront_size: 32
    .workgroup_processor_mode: 1
  - .args:
      - .offset:         0
        .size:           4
        .value_kind:     by_value
      - .offset:         8
        .size:           16
        .value_kind:     by_value
      - .offset:         24
        .size:           8
        .value_kind:     by_value
      - .actual_access:  read_only
        .address_space:  global
        .offset:         32
        .size:           8
        .value_kind:     global_buffer
      - .offset:         40
        .size:           8
        .value_kind:     by_value
      - .offset:         48
        .size:           4
        .value_kind:     by_value
      - .offset:         56
        .size:           8
        .value_kind:     by_value
      - .actual_access:  read_only
        .address_space:  global
        .offset:         64
        .size:           8
        .value_kind:     global_buffer
      - .offset:         72
        .size:           8
        .value_kind:     by_value
      - .offset:         80
        .size:           4
        .value_kind:     by_value
      - .offset:         88
        .size:           8
        .value_kind:     by_value
      - .offset:         96
        .size:           4
        .value_kind:     by_value
    .group_segment_fixed_size: 0
    .kernarg_segment_align: 8
    .kernarg_segment_size: 100
    .language:       OpenCL C
    .language_version:
      - 2
      - 0
    .max_flat_workgroup_size: 256
    .name:           _ZL19rocblas_axpy_kernelIiLi256E19rocblas_complex_numIdES1_PKPKS1_PKPS1_EviT2_lT3_lT_lT4_lSB_li
    .private_segment_fixed_size: 0
    .sgpr_count:     19
    .sgpr_spill_count: 0
    .symbol:         _ZL19rocblas_axpy_kernelIiLi256E19rocblas_complex_numIdES1_PKPKS1_PKPS1_EviT2_lT3_lT_lT4_lSB_li.kd
    .uniform_work_group_size: 1
    .uses_dynamic_stack: false
    .vgpr_count:     13
    .vgpr_spill_count: 0
    .wavefront_size: 32
    .workgroup_processor_mode: 1
  - .args:
      - .offset:         0
        .size:           4
        .value_kind:     by_value
      - .address_space:  global
        .offset:         8
        .size:           8
        .value_kind:     global_buffer
      - .offset:         16
        .size:           8
        .value_kind:     by_value
      - .actual_access:  read_only
        .address_space:  global
        .offset:         24
        .size:           8
        .value_kind:     global_buffer
      - .offset:         32
        .size:           8
        .value_kind:     by_value
      - .offset:         40
        .size:           8
        .value_kind:     by_value
      - .offset:         48
        .size:           8
        .value_kind:     by_value
      - .actual_access:  read_only
        .address_space:  global
        .offset:         56
        .size:           8
        .value_kind:     global_buffer
      - .offset:         64
        .size:           8
        .value_kind:     by_value
      - .offset:         72
        .size:           8
        .value_kind:     by_value
      - .offset:         80
        .size:           8
        .value_kind:     by_value
      - .offset:         88
        .size:           4
        .value_kind:     by_value
    .group_segment_fixed_size: 0
    .kernarg_segment_align: 8
    .kernarg_segment_size: 92
    .language:       OpenCL C
    .language_version:
      - 2
      - 0
    .max_flat_workgroup_size: 256
    .name:           _ZL19rocblas_axpy_kernelIlLi256E19rocblas_complex_numIdEPKS1_PKS3_PKPS1_EviT2_lT3_lT_lT4_lSB_li
    .private_segment_fixed_size: 0
    .sgpr_count:     18
    .sgpr_spill_count: 0
    .symbol:         _ZL19rocblas_axpy_kernelIlLi256E19rocblas_complex_numIdEPKS1_PKS3_PKPS1_EviT2_lT3_lT_lT4_lSB_li.kd
    .uniform_work_group_size: 1
    .uses_dynamic_stack: false
    .vgpr_count:     13
    .vgpr_spill_count: 0
    .wavefront_size: 32
    .workgroup_processor_mode: 1
  - .args:
      - .offset:         0
        .size:           4
        .value_kind:     by_value
      - .offset:         8
        .size:           16
        .value_kind:     by_value
      - .offset:         24
        .size:           8
        .value_kind:     by_value
      - .actual_access:  read_only
        .address_space:  global
        .offset:         32
        .size:           8
        .value_kind:     global_buffer
      - .offset:         40
        .size:           8
        .value_kind:     by_value
      - .offset:         48
        .size:           8
        .value_kind:     by_value
      - .offset:         56
        .size:           8
        .value_kind:     by_value
      - .actual_access:  read_only
        .address_space:  global
        .offset:         64
        .size:           8
        .value_kind:     global_buffer
      - .offset:         72
        .size:           8
        .value_kind:     by_value
      - .offset:         80
        .size:           8
        .value_kind:     by_value
      - .offset:         88
        .size:           8
        .value_kind:     by_value
      - .offset:         96
        .size:           4
        .value_kind:     by_value
    .group_segment_fixed_size: 0
    .kernarg_segment_align: 8
    .kernarg_segment_size: 100
    .language:       OpenCL C
    .language_version:
      - 2
      - 0
    .max_flat_workgroup_size: 256
    .name:           _ZL19rocblas_axpy_kernelIlLi256E19rocblas_complex_numIdES1_PKPKS1_PKPS1_EviT2_lT3_lT_lT4_lSB_li
    .private_segment_fixed_size: 0
    .sgpr_count:     18
    .sgpr_spill_count: 0
    .symbol:         _ZL19rocblas_axpy_kernelIlLi256E19rocblas_complex_numIdES1_PKPKS1_PKPS1_EviT2_lT3_lT_lT4_lSB_li.kd
    .uniform_work_group_size: 1
    .uses_dynamic_stack: false
    .vgpr_count:     13
    .vgpr_spill_count: 0
    .wavefront_size: 32
    .workgroup_processor_mode: 1
  - .args:
      - .offset:         0
        .size:           4
        .value_kind:     by_value
      - .address_space:  global
        .offset:         8
        .size:           8
        .value_kind:     global_buffer
      - .offset:         16
        .size:           8
        .value_kind:     by_value
      - .address_space:  global
        .offset:         24
        .size:           8
        .value_kind:     global_buffer
      - .offset:         32
        .size:           8
        .value_kind:     by_value
      - .offset:         40
        .size:           8
        .value_kind:     by_value
      - .address_space:  global
        .offset:         48
        .size:           8
        .value_kind:     global_buffer
      - .offset:         56
        .size:           8
        .value_kind:     by_value
      - .offset:         64
        .size:           8
        .value_kind:     by_value
      - .offset:         72
        .size:           4
        .value_kind:     by_value
    .group_segment_fixed_size: 0
    .kernarg_segment_align: 8
    .kernarg_segment_size: 76
    .language:       OpenCL C
    .language_version:
      - 2
      - 0
    .max_flat_workgroup_size: 256
    .name:           _ZL26rocblas_haxpy_mlt_8_kernelILi256EPKDF16_PK16rocblas_bfloat16PS2_EviT0_lT1_llT2_lli
    .private_segment_fixed_size: 0
    .sgpr_count:     34
    .sgpr_spill_count: 0
    .symbol:         _ZL26rocblas_haxpy_mlt_8_kernelILi256EPKDF16_PK16rocblas_bfloat16PS2_EviT0_lT1_llT2_lli.kd
    .uniform_work_group_size: 1
    .uses_dynamic_stack: false
    .vgpr_count:     11
    .vgpr_spill_count: 0
    .wavefront_size: 32
    .workgroup_processor_mode: 1
  - .args:
      - .offset:         0
        .size:           4
        .value_kind:     by_value
      - .address_space:  global
        .offset:         8
        .size:           8
        .value_kind:     global_buffer
      - .offset:         16
        .size:           8
        .value_kind:     by_value
      - .address_space:  global
        .offset:         24
        .size:           8
        .value_kind:     global_buffer
      - .offset:         32
        .size:           8
        .value_kind:     by_value
      - .offset:         40
        .size:           8
        .value_kind:     by_value
      - .address_space:  global
        .offset:         48
        .size:           8
        .value_kind:     global_buffer
      - .offset:         56
        .size:           8
        .value_kind:     by_value
      - .offset:         64
        .size:           8
        .value_kind:     by_value
      - .offset:         72
        .size:           4
        .value_kind:     by_value
    .group_segment_fixed_size: 0
    .kernarg_segment_align: 8
    .kernarg_segment_size: 76
    .language:       OpenCL C
    .language_version:
      - 2
      - 0
    .max_flat_workgroup_size: 256
    .name:           _ZL26rocblas_haxpy_mod_8_kernelILi256EPK16rocblas_bfloat16S2_PS0_EviT0_lT1_llT2_lli
    .private_segment_fixed_size: 0
    .sgpr_count:     34
    .sgpr_spill_count: 0
    .symbol:         _ZL26rocblas_haxpy_mod_8_kernelILi256EPK16rocblas_bfloat16S2_PS0_EviT0_lT1_llT2_lli.kd
    .uniform_work_group_size: 1
    .uses_dynamic_stack: false
    .vgpr_count:     5
    .vgpr_spill_count: 0
    .wavefront_size: 32
    .workgroup_processor_mode: 1
  - .args:
      - .offset:         0
        .size:           4
        .value_kind:     by_value
      - .offset:         4
        .size:           2
        .value_kind:     by_value
      - .offset:         8
        .size:           8
        .value_kind:     by_value
      - .address_space:  global
        .offset:         16
        .size:           8
        .value_kind:     global_buffer
      - .offset:         24
        .size:           8
        .value_kind:     by_value
      - .offset:         32
        .size:           8
        .value_kind:     by_value
      - .address_space:  global
        .offset:         40
        .size:           8
        .value_kind:     global_buffer
      - .offset:         48
        .size:           8
        .value_kind:     by_value
      - .offset:         56
        .size:           8
        .value_kind:     by_value
      - .offset:         64
        .size:           4
        .value_kind:     by_value
    .group_segment_fixed_size: 0
    .kernarg_segment_align: 8
    .kernarg_segment_size: 68
    .language:       OpenCL C
    .language_version:
      - 2
      - 0
    .max_flat_workgroup_size: 256
    .name:           _ZL26rocblas_haxpy_mlt_8_kernelILi256EDF16_PK16rocblas_bfloat16PS0_EviT0_lT1_llT2_lli
    .private_segment_fixed_size: 0
    .sgpr_count:     22
    .sgpr_spill_count: 0
    .symbol:         _ZL26rocblas_haxpy_mlt_8_kernelILi256EDF16_PK16rocblas_bfloat16PS0_EviT0_lT1_llT2_lli.kd
    .uniform_work_group_size: 1
    .uses_dynamic_stack: false
    .vgpr_count:     10
    .vgpr_spill_count: 0
    .wavefront_size: 32
    .workgroup_processor_mode: 1
  - .args:
      - .offset:         0
        .size:           4
        .value_kind:     by_value
      - .offset:         4
        .size:           2
        .value_kind:     by_value
      - .offset:         8
        .size:           8
        .value_kind:     by_value
      - .address_space:  global
        .offset:         16
        .size:           8
        .value_kind:     global_buffer
      - .offset:         24
        .size:           8
        .value_kind:     by_value
      - .offset:         32
        .size:           8
        .value_kind:     by_value
      - .address_space:  global
        .offset:         40
        .size:           8
        .value_kind:     global_buffer
      - .offset:         48
        .size:           8
        .value_kind:     by_value
      - .offset:         56
        .size:           8
        .value_kind:     by_value
      - .offset:         64
        .size:           4
        .value_kind:     by_value
    .group_segment_fixed_size: 0
    .kernarg_segment_align: 8
    .kernarg_segment_size: 68
    .language:       OpenCL C
    .language_version:
      - 2
      - 0
    .max_flat_workgroup_size: 256
    .name:           _ZL26rocblas_haxpy_mod_8_kernelILi256E16rocblas_bfloat16PKS0_PS0_EviT0_lT1_llT2_lli
    .private_segment_fixed_size: 0
    .sgpr_count:     18
    .sgpr_spill_count: 0
    .symbol:         _ZL26rocblas_haxpy_mod_8_kernelILi256E16rocblas_bfloat16PKS0_PS0_EviT0_lT1_llT2_lli.kd
    .uniform_work_group_size: 1
    .uses_dynamic_stack: false
    .vgpr_count:     5
    .vgpr_spill_count: 0
    .wavefront_size: 32
    .workgroup_processor_mode: 1
  - .args:
      - .offset:         0
        .size:           4
        .value_kind:     by_value
      - .address_space:  global
        .offset:         8
        .size:           8
        .value_kind:     global_buffer
      - .offset:         16
        .size:           8
        .value_kind:     by_value
      - .actual_access:  read_only
        .address_space:  global
        .offset:         24
        .size:           8
        .value_kind:     global_buffer
      - .offset:         32
        .size:           8
        .value_kind:     by_value
      - .offset:         40
        .size:           8
        .value_kind:     by_value
      - .address_space:  global
        .offset:         48
        .size:           8
        .value_kind:     global_buffer
      - .offset:         56
        .size:           8
        .value_kind:     by_value
      - .offset:         64
        .size:           8
        .value_kind:     by_value
      - .offset:         72
        .size:           4
        .value_kind:     by_value
    .group_segment_fixed_size: 0
    .kernarg_segment_align: 8
    .kernarg_segment_size: 76
    .language:       OpenCL C
    .language_version:
      - 2
      - 0
    .max_flat_workgroup_size: 256
    .name:           _ZL22rocblas_saxpy_2_kernelILi256EfPK16rocblas_bfloat16S2_PS0_EviT1_lT2_llT3_lli
    .private_segment_fixed_size: 0
    .sgpr_count:     20
    .sgpr_spill_count: 0
    .symbol:         _ZL22rocblas_saxpy_2_kernelILi256EfPK16rocblas_bfloat16S2_PS0_EviT1_lT2_llT3_lli.kd
    .uniform_work_group_size: 1
    .uses_dynamic_stack: false
    .vgpr_count:     13
    .vgpr_spill_count: 0
    .wavefront_size: 32
    .workgroup_processor_mode: 1
  - .args:
      - .offset:         0
        .size:           4
        .value_kind:     by_value
      - .offset:         4
        .size:           2
        .value_kind:     by_value
      - .offset:         8
        .size:           8
        .value_kind:     by_value
      - .actual_access:  read_only
        .address_space:  global
        .offset:         16
        .size:           8
        .value_kind:     global_buffer
      - .offset:         24
        .size:           8
        .value_kind:     by_value
      - .offset:         32
        .size:           8
        .value_kind:     by_value
      - .address_space:  global
        .offset:         40
        .size:           8
        .value_kind:     global_buffer
      - .offset:         48
        .size:           8
        .value_kind:     by_value
      - .offset:         56
        .size:           8
        .value_kind:     by_value
      - .offset:         64
        .size:           4
        .value_kind:     by_value
    .group_segment_fixed_size: 0
    .kernarg_segment_align: 8
    .kernarg_segment_size: 68
    .language:       OpenCL C
    .language_version:
      - 2
      - 0
    .max_flat_workgroup_size: 256
    .name:           _ZL22rocblas_saxpy_2_kernelILi256Ef16rocblas_bfloat16PKS0_PS0_EviT1_lT2_llT3_lli
    .private_segment_fixed_size: 0
    .sgpr_count:     19
    .sgpr_spill_count: 0
    .symbol:         _ZL22rocblas_saxpy_2_kernelILi256Ef16rocblas_bfloat16PKS0_PS0_EviT1_lT2_llT3_lli.kd
    .uniform_work_group_size: 1
    .uses_dynamic_stack: false
    .vgpr_count:     12
    .vgpr_spill_count: 0
    .wavefront_size: 32
    .workgroup_processor_mode: 1
  - .args:
      - .offset:         0
        .size:           4
        .value_kind:     by_value
      - .address_space:  global
        .offset:         8
        .size:           8
        .value_kind:     global_buffer
      - .offset:         16
        .size:           8
        .value_kind:     by_value
      - .address_space:  global
        .offset:         24
        .size:           8
        .value_kind:     global_buffer
      - .offset:         32
        .size:           8
        .value_kind:     by_value
      - .offset:         40
        .size:           4
        .value_kind:     by_value
      - .offset:         48
        .size:           8
        .value_kind:     by_value
      - .address_space:  global
        .offset:         56
        .size:           8
        .value_kind:     global_buffer
      - .offset:         64
        .size:           8
        .value_kind:     by_value
      - .offset:         72
        .size:           4
        .value_kind:     by_value
      - .offset:         80
        .size:           8
        .value_kind:     by_value
      - .offset:         88
        .size:           4
        .value_kind:     by_value
    .group_segment_fixed_size: 0
    .kernarg_segment_align: 8
    .kernarg_segment_size: 92
    .language:       OpenCL C
    .language_version:
      - 2
      - 0
    .max_flat_workgroup_size: 1024
    .name:           _ZL27rocblas_axpy_kernel_batchedIiLi128ELi8EfPK16rocblas_bfloat16S2_PS0_EviT3_lT4_lT_lT5_lS6_li
    .private_segment_fixed_size: 0
    .sgpr_count:     22
    .sgpr_spill_count: 0
    .symbol:         _ZL27rocblas_axpy_kernel_batchedIiLi128ELi8EfPK16rocblas_bfloat16S2_PS0_EviT3_lT4_lT_lT5_lS6_li.kd
    .uniform_work_group_size: 1
    .uses_dynamic_stack: false
    .vgpr_count:     13
    .vgpr_spill_count: 0
    .wavefront_size: 32
    .workgroup_processor_mode: 1
  - .args:
      - .offset:         0
        .size:           4
        .value_kind:     by_value
      - .offset:         4
        .size:           2
        .value_kind:     by_value
      - .offset:         8
        .size:           8
        .value_kind:     by_value
      - .address_space:  global
        .offset:         16
        .size:           8
        .value_kind:     global_buffer
      - .offset:         24
        .size:           8
        .value_kind:     by_value
      - .offset:         32
        .size:           4
        .value_kind:     by_value
      - .offset:         40
        .size:           8
        .value_kind:     by_value
      - .address_space:  global
        .offset:         48
        .size:           8
        .value_kind:     global_buffer
      - .offset:         56
        .size:           8
        .value_kind:     by_value
      - .offset:         64
        .size:           4
        .value_kind:     by_value
      - .offset:         72
        .size:           8
        .value_kind:     by_value
      - .offset:         80
        .size:           4
        .value_kind:     by_value
    .group_segment_fixed_size: 0
    .kernarg_segment_align: 8
    .kernarg_segment_size: 84
    .language:       OpenCL C
    .language_version:
      - 2
      - 0
    .max_flat_workgroup_size: 1024
    .name:           _ZL27rocblas_axpy_kernel_batchedIiLi128ELi8Ef16rocblas_bfloat16PKS0_PS0_EviT3_lT4_lT_lT5_lS6_li
    .private_segment_fixed_size: 0
    .sgpr_count:     22
    .sgpr_spill_count: 0
    .symbol:         _ZL27rocblas_axpy_kernel_batchedIiLi128ELi8Ef16rocblas_bfloat16PKS0_PS0_EviT3_lT4_lT_lT5_lS6_li.kd
    .uniform_work_group_size: 1
    .uses_dynamic_stack: false
    .vgpr_count:     12
    .vgpr_spill_count: 0
    .wavefront_size: 32
    .workgroup_processor_mode: 1
  - .args:
      - .offset:         0
        .size:           4
        .value_kind:     by_value
      - .address_space:  global
        .offset:         8
        .size:           8
        .value_kind:     global_buffer
      - .offset:         16
        .size:           8
        .value_kind:     by_value
      - .actual_access:  read_only
        .address_space:  global
        .offset:         24
        .size:           8
        .value_kind:     global_buffer
      - .offset:         32
        .size:           8
        .value_kind:     by_value
      - .offset:         40
        .size:           4
        .value_kind:     by_value
      - .offset:         48
        .size:           8
        .value_kind:     by_value
      - .address_space:  global
        .offset:         56
        .size:           8
        .value_kind:     global_buffer
      - .offset:         64
        .size:           8
        .value_kind:     by_value
      - .offset:         72
        .size:           4
        .value_kind:     by_value
      - .offset:         80
        .size:           8
        .value_kind:     by_value
      - .offset:         88
        .size:           4
        .value_kind:     by_value
    .group_segment_fixed_size: 0
    .kernarg_segment_align: 8
    .kernarg_segment_size: 92
    .language:       OpenCL C
    .language_version:
      - 2
      - 0
    .max_flat_workgroup_size: 256
    .name:           _ZL19rocblas_axpy_kernelIiLi256EfPK16rocblas_bfloat16S2_PS0_EviT2_lT3_lT_lT4_lS6_li
    .private_segment_fixed_size: 0
    .sgpr_count:     18
    .sgpr_spill_count: 0
    .symbol:         _ZL19rocblas_axpy_kernelIiLi256EfPK16rocblas_bfloat16S2_PS0_EviT2_lT3_lT_lT4_lS6_li.kd
    .uniform_work_group_size: 1
    .uses_dynamic_stack: false
    .vgpr_count:     8
    .vgpr_spill_count: 0
    .wavefront_size: 32
    .workgroup_processor_mode: 1
  - .args:
      - .offset:         0
        .size:           4
        .value_kind:     by_value
      - .offset:         4
        .size:           2
        .value_kind:     by_value
      - .offset:         8
        .size:           8
        .value_kind:     by_value
      - .actual_access:  read_only
        .address_space:  global
        .offset:         16
        .size:           8
        .value_kind:     global_buffer
      - .offset:         24
        .size:           8
        .value_kind:     by_value
      - .offset:         32
        .size:           4
        .value_kind:     by_value
      - .offset:         40
        .size:           8
        .value_kind:     by_value
      - .address_space:  global
        .offset:         48
        .size:           8
        .value_kind:     global_buffer
      - .offset:         56
        .size:           8
        .value_kind:     by_value
      - .offset:         64
        .size:           4
        .value_kind:     by_value
      - .offset:         72
        .size:           8
        .value_kind:     by_value
      - .offset:         80
        .size:           4
        .value_kind:     by_value
    .group_segment_fixed_size: 0
    .kernarg_segment_align: 8
    .kernarg_segment_size: 84
    .language:       OpenCL C
    .language_version:
      - 2
      - 0
    .max_flat_workgroup_size: 256
    .name:           _ZL19rocblas_axpy_kernelIiLi256Ef16rocblas_bfloat16PKS0_PS0_EviT2_lT3_lT_lT4_lS6_li
    .private_segment_fixed_size: 0
    .sgpr_count:     18
    .sgpr_spill_count: 0
    .symbol:         _ZL19rocblas_axpy_kernelIiLi256Ef16rocblas_bfloat16PKS0_PS0_EviT2_lT3_lT_lT4_lS6_li.kd
    .uniform_work_group_size: 1
    .uses_dynamic_stack: false
    .vgpr_count:     7
    .vgpr_spill_count: 0
    .wavefront_size: 32
    .workgroup_processor_mode: 1
  - .args:
      - .offset:         0
        .size:           4
        .value_kind:     by_value
      - .address_space:  global
        .offset:         8
        .size:           8
        .value_kind:     global_buffer
      - .offset:         16
        .size:           8
        .value_kind:     by_value
      - .actual_access:  read_only
        .address_space:  global
        .offset:         24
        .size:           8
        .value_kind:     global_buffer
      - .offset:         32
        .size:           8
        .value_kind:     by_value
      - .offset:         40
        .size:           8
        .value_kind:     by_value
      - .offset:         48
        .size:           8
        .value_kind:     by_value
      - .address_space:  global
        .offset:         56
        .size:           8
        .value_kind:     global_buffer
      - .offset:         64
        .size:           8
        .value_kind:     by_value
      - .offset:         72
        .size:           8
        .value_kind:     by_value
      - .offset:         80
        .size:           8
        .value_kind:     by_value
      - .offset:         88
        .size:           4
        .value_kind:     by_value
    .group_segment_fixed_size: 0
    .kernarg_segment_align: 8
    .kernarg_segment_size: 92
    .language:       OpenCL C
    .language_version:
      - 2
      - 0
    .max_flat_workgroup_size: 256
    .name:           _ZL19rocblas_axpy_kernelIlLi256EfPK16rocblas_bfloat16S2_PS0_EviT2_lT3_lT_lT4_lS6_li
    .private_segment_fixed_size: 0
    .sgpr_count:     22
    .sgpr_spill_count: 0
    .symbol:         _ZL19rocblas_axpy_kernelIlLi256EfPK16rocblas_bfloat16S2_PS0_EviT2_lT3_lT_lT4_lS6_li.kd
    .uniform_work_group_size: 1
    .uses_dynamic_stack: false
    .vgpr_count:     8
    .vgpr_spill_count: 0
    .wavefront_size: 32
    .workgroup_processor_mode: 1
  - .args:
      - .offset:         0
        .size:           4
        .value_kind:     by_value
      - .offset:         4
        .size:           2
        .value_kind:     by_value
      - .offset:         8
        .size:           8
        .value_kind:     by_value
      - .actual_access:  read_only
        .address_space:  global
        .offset:         16
        .size:           8
        .value_kind:     global_buffer
      - .offset:         24
        .size:           8
        .value_kind:     by_value
      - .offset:         32
        .size:           8
        .value_kind:     by_value
      - .offset:         40
        .size:           8
        .value_kind:     by_value
      - .address_space:  global
        .offset:         48
        .size:           8
        .value_kind:     global_buffer
      - .offset:         56
        .size:           8
        .value_kind:     by_value
      - .offset:         64
        .size:           8
        .value_kind:     by_value
      - .offset:         72
        .size:           8
        .value_kind:     by_value
      - .offset:         80
        .size:           4
        .value_kind:     by_value
    .group_segment_fixed_size: 0
    .kernarg_segment_align: 8
    .kernarg_segment_size: 84
    .language:       OpenCL C
    .language_version:
      - 2
      - 0
    .max_flat_workgroup_size: 256
    .name:           _ZL19rocblas_axpy_kernelIlLi256Ef16rocblas_bfloat16PKS0_PS0_EviT2_lT3_lT_lT4_lS6_li
    .private_segment_fixed_size: 0
    .sgpr_count:     22
    .sgpr_spill_count: 0
    .symbol:         _ZL19rocblas_axpy_kernelIlLi256Ef16rocblas_bfloat16PKS0_PS0_EviT2_lT3_lT_lT4_lS6_li.kd
    .uniform_work_group_size: 1
    .uses_dynamic_stack: false
    .vgpr_count:     7
    .vgpr_spill_count: 0
    .wavefront_size: 32
    .workgroup_processor_mode: 1
  - .args:
      - .offset:         0
        .size:           4
        .value_kind:     by_value
      - .address_space:  global
        .offset:         8
        .size:           8
        .value_kind:     global_buffer
      - .offset:         16
        .size:           8
        .value_kind:     by_value
      - .address_space:  global
        .offset:         24
        .size:           8
        .value_kind:     global_buffer
      - .offset:         32
        .size:           8
        .value_kind:     by_value
      - .offset:         40
        .size:           8
        .value_kind:     by_value
      - .address_space:  global
        .offset:         48
        .size:           8
        .value_kind:     global_buffer
      - .offset:         56
        .size:           8
        .value_kind:     by_value
      - .offset:         64
        .size:           8
        .value_kind:     by_value
      - .offset:         72
        .size:           4
        .value_kind:     by_value
    .group_segment_fixed_size: 0
    .kernarg_segment_align: 8
    .kernarg_segment_size: 76
    .language:       OpenCL C
    .language_version:
      - 2
      - 0
    .max_flat_workgroup_size: 256
    .name:           _ZL26rocblas_haxpy_mod_8_kernelILi256EPKfPK16rocblas_bfloat16PS2_EviT0_lT1_llT2_lli
    .private_segment_fixed_size: 0
    .sgpr_count:     34
    .sgpr_spill_count: 0
    .symbol:         _ZL26rocblas_haxpy_mod_8_kernelILi256EPKfPK16rocblas_bfloat16PS2_EviT0_lT1_llT2_lli.kd
    .uniform_work_group_size: 1
    .uses_dynamic_stack: false
    .vgpr_count:     5
    .vgpr_spill_count: 0
    .wavefront_size: 32
    .workgroup_processor_mode: 1
  - .args:
      - .offset:         0
        .size:           4
        .value_kind:     by_value
      - .offset:         4
        .size:           4
        .value_kind:     by_value
      - .offset:         8
        .size:           8
        .value_kind:     by_value
      - .address_space:  global
        .offset:         16
        .size:           8
        .value_kind:     global_buffer
      - .offset:         24
        .size:           8
        .value_kind:     by_value
      - .offset:         32
        .size:           8
        .value_kind:     by_value
      - .address_space:  global
        .offset:         40
        .size:           8
        .value_kind:     global_buffer
      - .offset:         48
        .size:           8
        .value_kind:     by_value
      - .offset:         56
        .size:           8
        .value_kind:     by_value
      - .offset:         64
        .size:           4
        .value_kind:     by_value
    .group_segment_fixed_size: 0
    .kernarg_segment_align: 8
    .kernarg_segment_size: 68
    .language:       OpenCL C
    .language_version:
      - 2
      - 0
    .max_flat_workgroup_size: 256
    .name:           _ZL26rocblas_haxpy_mod_8_kernelILi256EfPK16rocblas_bfloat16PS0_EviT0_lT1_llT2_lli
    .private_segment_fixed_size: 0
    .sgpr_count:     18
    .sgpr_spill_count: 0
    .symbol:         _ZL26rocblas_haxpy_mod_8_kernelILi256EfPK16rocblas_bfloat16PS0_EviT0_lT1_llT2_lli.kd
    .uniform_work_group_size: 1
    .uses_dynamic_stack: false
    .vgpr_count:     5
    .vgpr_spill_count: 0
    .wavefront_size: 32
    .workgroup_processor_mode: 1
  - .args:
      - .offset:         0
        .size:           4
        .value_kind:     by_value
      - .address_space:  global
        .offset:         8
        .size:           8
        .value_kind:     global_buffer
      - .offset:         16
        .size:           8
        .value_kind:     by_value
      - .actual_access:  read_only
        .address_space:  global
        .offset:         24
        .size:           8
        .value_kind:     global_buffer
      - .offset:         32
        .size:           8
        .value_kind:     by_value
      - .offset:         40
        .size:           8
        .value_kind:     by_value
      - .address_space:  global
        .offset:         48
        .size:           8
        .value_kind:     global_buffer
      - .offset:         56
        .size:           8
        .value_kind:     by_value
      - .offset:         64
        .size:           8
        .value_kind:     by_value
      - .offset:         72
        .size:           4
        .value_kind:     by_value
    .group_segment_fixed_size: 0
    .kernarg_segment_align: 8
    .kernarg_segment_size: 76
    .language:       OpenCL C
    .language_version:
      - 2
      - 0
    .max_flat_workgroup_size: 256
    .name:           _ZL22rocblas_saxpy_2_kernelILi256EfPKfPK16rocblas_bfloat16PS2_EviT1_lT2_llT3_lli
    .private_segment_fixed_size: 0
    .sgpr_count:     20
    .sgpr_spill_count: 0
    .symbol:         _ZL22rocblas_saxpy_2_kernelILi256EfPKfPK16rocblas_bfloat16PS2_EviT1_lT2_llT3_lli.kd
    .uniform_work_group_size: 1
    .uses_dynamic_stack: false
    .vgpr_count:     12
    .vgpr_spill_count: 0
    .wavefront_size: 32
    .workgroup_processor_mode: 1
  - .args:
      - .offset:         0
        .size:           4
        .value_kind:     by_value
      - .offset:         4
        .size:           4
        .value_kind:     by_value
      - .offset:         8
        .size:           8
        .value_kind:     by_value
      - .actual_access:  read_only
        .address_space:  global
        .offset:         16
        .size:           8
        .value_kind:     global_buffer
      - .offset:         24
        .size:           8
        .value_kind:     by_value
      - .offset:         32
        .size:           8
        .value_kind:     by_value
      - .address_space:  global
        .offset:         40
        .size:           8
        .value_kind:     global_buffer
      - .offset:         48
        .size:           8
        .value_kind:     by_value
      - .offset:         56
        .size:           8
        .value_kind:     by_value
      - .offset:         64
        .size:           4
        .value_kind:     by_value
    .group_segment_fixed_size: 0
    .kernarg_segment_align: 8
    .kernarg_segment_size: 68
    .language:       OpenCL C
    .language_version:
      - 2
      - 0
    .max_flat_workgroup_size: 256
    .name:           _ZL22rocblas_saxpy_2_kernelILi256EffPK16rocblas_bfloat16PS0_EviT1_lT2_llT3_lli
    .private_segment_fixed_size: 0
    .sgpr_count:     19
    .sgpr_spill_count: 0
    .symbol:         _ZL22rocblas_saxpy_2_kernelILi256EffPK16rocblas_bfloat16PS0_EviT1_lT2_llT3_lli.kd
    .uniform_work_group_size: 1
    .uses_dynamic_stack: false
    .vgpr_count:     12
    .vgpr_spill_count: 0
    .wavefront_size: 32
    .workgroup_processor_mode: 1
  - .args:
      - .offset:         0
        .size:           4
        .value_kind:     by_value
      - .address_space:  global
        .offset:         8
        .size:           8
        .value_kind:     global_buffer
      - .offset:         16
        .size:           8
        .value_kind:     by_value
      - .address_space:  global
        .offset:         24
        .size:           8
        .value_kind:     global_buffer
      - .offset:         32
        .size:           8
        .value_kind:     by_value
      - .offset:         40
        .size:           4
        .value_kind:     by_value
      - .offset:         48
        .size:           8
        .value_kind:     by_value
      - .address_space:  global
        .offset:         56
        .size:           8
        .value_kind:     global_buffer
      - .offset:         64
        .size:           8
        .value_kind:     by_value
      - .offset:         72
        .size:           4
        .value_kind:     by_value
      - .offset:         80
        .size:           8
        .value_kind:     by_value
      - .offset:         88
        .size:           4
        .value_kind:     by_value
    .group_segment_fixed_size: 0
    .kernarg_segment_align: 8
    .kernarg_segment_size: 92
    .language:       OpenCL C
    .language_version:
      - 2
      - 0
    .max_flat_workgroup_size: 1024
    .name:           _ZL27rocblas_axpy_kernel_batchedIiLi128ELi8EfPKfPK16rocblas_bfloat16PS2_EviT3_lT4_lT_lT5_lS8_li
    .private_segment_fixed_size: 0
    .sgpr_count:     22
    .sgpr_spill_count: 0
    .symbol:         _ZL27rocblas_axpy_kernel_batchedIiLi128ELi8EfPKfPK16rocblas_bfloat16PS2_EviT3_lT4_lT_lT5_lS8_li.kd
    .uniform_work_group_size: 1
    .uses_dynamic_stack: false
    .vgpr_count:     13
    .vgpr_spill_count: 0
    .wavefront_size: 32
    .workgroup_processor_mode: 1
  - .args:
      - .offset:         0
        .size:           4
        .value_kind:     by_value
      - .offset:         4
        .size:           4
        .value_kind:     by_value
      - .offset:         8
        .size:           8
        .value_kind:     by_value
      - .address_space:  global
        .offset:         16
        .size:           8
        .value_kind:     global_buffer
      - .offset:         24
        .size:           8
        .value_kind:     by_value
      - .offset:         32
        .size:           4
        .value_kind:     by_value
      - .offset:         40
        .size:           8
        .value_kind:     by_value
      - .address_space:  global
        .offset:         48
        .size:           8
        .value_kind:     global_buffer
      - .offset:         56
        .size:           8
        .value_kind:     by_value
      - .offset:         64
        .size:           4
        .value_kind:     by_value
      - .offset:         72
        .size:           8
        .value_kind:     by_value
      - .offset:         80
        .size:           4
        .value_kind:     by_value
    .group_segment_fixed_size: 0
    .kernarg_segment_align: 8
    .kernarg_segment_size: 84
    .language:       OpenCL C
    .language_version:
      - 2
      - 0
    .max_flat_workgroup_size: 1024
    .name:           _ZL27rocblas_axpy_kernel_batchedIiLi128ELi8EffPK16rocblas_bfloat16PS0_EviT3_lT4_lT_lT5_lS6_li
    .private_segment_fixed_size: 0
    .sgpr_count:     22
    .sgpr_spill_count: 0
    .symbol:         _ZL27rocblas_axpy_kernel_batchedIiLi128ELi8EffPK16rocblas_bfloat16PS0_EviT3_lT4_lT_lT5_lS6_li.kd
    .uniform_work_group_size: 1
    .uses_dynamic_stack: false
    .vgpr_count:     12
    .vgpr_spill_count: 0
    .wavefront_size: 32
    .workgroup_processor_mode: 1
  - .args:
      - .offset:         0
        .size:           4
        .value_kind:     by_value
      - .address_space:  global
        .offset:         8
        .size:           8
        .value_kind:     global_buffer
      - .offset:         16
        .size:           8
        .value_kind:     by_value
      - .actual_access:  read_only
        .address_space:  global
        .offset:         24
        .size:           8
        .value_kind:     global_buffer
      - .offset:         32
        .size:           8
        .value_kind:     by_value
      - .offset:         40
        .size:           4
        .value_kind:     by_value
      - .offset:         48
        .size:           8
        .value_kind:     by_value
      - .address_space:  global
        .offset:         56
        .size:           8
        .value_kind:     global_buffer
      - .offset:         64
        .size:           8
        .value_kind:     by_value
      - .offset:         72
        .size:           4
        .value_kind:     by_value
      - .offset:         80
        .size:           8
        .value_kind:     by_value
      - .offset:         88
        .size:           4
        .value_kind:     by_value
    .group_segment_fixed_size: 0
    .kernarg_segment_align: 8
    .kernarg_segment_size: 92
    .language:       OpenCL C
    .language_version:
      - 2
      - 0
    .max_flat_workgroup_size: 256
    .name:           _ZL19rocblas_axpy_kernelIiLi256EfPKfPK16rocblas_bfloat16PS2_EviT2_lT3_lT_lT4_lS8_li
    .private_segment_fixed_size: 0
    .sgpr_count:     18
    .sgpr_spill_count: 0
    .symbol:         _ZL19rocblas_axpy_kernelIiLi256EfPKfPK16rocblas_bfloat16PS2_EviT2_lT3_lT_lT4_lS8_li.kd
    .uniform_work_group_size: 1
    .uses_dynamic_stack: false
    .vgpr_count:     7
    .vgpr_spill_count: 0
    .wavefront_size: 32
    .workgroup_processor_mode: 1
  - .args:
      - .offset:         0
        .size:           4
        .value_kind:     by_value
      - .offset:         4
        .size:           4
        .value_kind:     by_value
      - .offset:         8
        .size:           8
        .value_kind:     by_value
      - .actual_access:  read_only
        .address_space:  global
        .offset:         16
        .size:           8
        .value_kind:     global_buffer
      - .offset:         24
        .size:           8
        .value_kind:     by_value
      - .offset:         32
        .size:           4
        .value_kind:     by_value
      - .offset:         40
        .size:           8
        .value_kind:     by_value
      - .address_space:  global
        .offset:         48
        .size:           8
        .value_kind:     global_buffer
      - .offset:         56
        .size:           8
        .value_kind:     by_value
      - .offset:         64
        .size:           4
        .value_kind:     by_value
      - .offset:         72
        .size:           8
        .value_kind:     by_value
      - .offset:         80
        .size:           4
        .value_kind:     by_value
    .group_segment_fixed_size: 0
    .kernarg_segment_align: 8
    .kernarg_segment_size: 84
    .language:       OpenCL C
    .language_version:
      - 2
      - 0
    .max_flat_workgroup_size: 256
    .name:           _ZL19rocblas_axpy_kernelIiLi256EffPK16rocblas_bfloat16PS0_EviT2_lT3_lT_lT4_lS6_li
    .private_segment_fixed_size: 0
    .sgpr_count:     18
    .sgpr_spill_count: 0
    .symbol:         _ZL19rocblas_axpy_kernelIiLi256EffPK16rocblas_bfloat16PS0_EviT2_lT3_lT_lT4_lS6_li.kd
    .uniform_work_group_size: 1
    .uses_dynamic_stack: false
    .vgpr_count:     7
    .vgpr_spill_count: 0
    .wavefront_size: 32
    .workgroup_processor_mode: 1
  - .args:
      - .offset:         0
        .size:           4
        .value_kind:     by_value
      - .address_space:  global
        .offset:         8
        .size:           8
        .value_kind:     global_buffer
      - .offset:         16
        .size:           8
        .value_kind:     by_value
      - .actual_access:  read_only
        .address_space:  global
        .offset:         24
        .size:           8
        .value_kind:     global_buffer
      - .offset:         32
        .size:           8
        .value_kind:     by_value
      - .offset:         40
        .size:           8
        .value_kind:     by_value
      - .offset:         48
        .size:           8
        .value_kind:     by_value
      - .address_space:  global
        .offset:         56
        .size:           8
        .value_kind:     global_buffer
      - .offset:         64
        .size:           8
        .value_kind:     by_value
      - .offset:         72
        .size:           8
        .value_kind:     by_value
      - .offset:         80
        .size:           8
        .value_kind:     by_value
      - .offset:         88
        .size:           4
        .value_kind:     by_value
    .group_segment_fixed_size: 0
    .kernarg_segment_align: 8
    .kernarg_segment_size: 92
    .language:       OpenCL C
    .language_version:
      - 2
      - 0
    .max_flat_workgroup_size: 256
    .name:           _ZL19rocblas_axpy_kernelIlLi256EfPKfPK16rocblas_bfloat16PS2_EviT2_lT3_lT_lT4_lS8_li
    .private_segment_fixed_size: 0
    .sgpr_count:     22
    .sgpr_spill_count: 0
    .symbol:         _ZL19rocblas_axpy_kernelIlLi256EfPKfPK16rocblas_bfloat16PS2_EviT2_lT3_lT_lT4_lS8_li.kd
    .uniform_work_group_size: 1
    .uses_dynamic_stack: false
    .vgpr_count:     7
    .vgpr_spill_count: 0
    .wavefront_size: 32
    .workgroup_processor_mode: 1
  - .args:
      - .offset:         0
        .size:           4
        .value_kind:     by_value
      - .offset:         4
        .size:           4
        .value_kind:     by_value
      - .offset:         8
        .size:           8
        .value_kind:     by_value
      - .actual_access:  read_only
        .address_space:  global
        .offset:         16
        .size:           8
        .value_kind:     global_buffer
      - .offset:         24
        .size:           8
        .value_kind:     by_value
      - .offset:         32
        .size:           8
        .value_kind:     by_value
      - .offset:         40
        .size:           8
        .value_kind:     by_value
      - .address_space:  global
        .offset:         48
        .size:           8
        .value_kind:     global_buffer
      - .offset:         56
        .size:           8
        .value_kind:     by_value
      - .offset:         64
        .size:           8
        .value_kind:     by_value
      - .offset:         72
        .size:           8
        .value_kind:     by_value
      - .offset:         80
        .size:           4
        .value_kind:     by_value
    .group_segment_fixed_size: 0
    .kernarg_segment_align: 8
    .kernarg_segment_size: 84
    .language:       OpenCL C
    .language_version:
      - 2
      - 0
    .max_flat_workgroup_size: 256
    .name:           _ZL19rocblas_axpy_kernelIlLi256EffPK16rocblas_bfloat16PS0_EviT2_lT3_lT_lT4_lS6_li
    .private_segment_fixed_size: 0
    .sgpr_count:     22
    .sgpr_spill_count: 0
    .symbol:         _ZL19rocblas_axpy_kernelIlLi256EffPK16rocblas_bfloat16PS0_EviT2_lT3_lT_lT4_lS6_li.kd
    .uniform_work_group_size: 1
    .uses_dynamic_stack: false
    .vgpr_count:     7
    .vgpr_spill_count: 0
    .wavefront_size: 32
    .workgroup_processor_mode: 1
  - .args:
      - .offset:         0
        .size:           4
        .value_kind:     by_value
      - .address_space:  global
        .offset:         8
        .size:           8
        .value_kind:     global_buffer
      - .offset:         16
        .size:           8
        .value_kind:     by_value
      - .actual_access:  read_only
        .address_space:  global
        .offset:         24
        .size:           8
        .value_kind:     global_buffer
      - .offset:         32
        .size:           8
        .value_kind:     by_value
      - .offset:         40
        .size:           8
        .value_kind:     by_value
      - .address_space:  global
        .offset:         48
        .size:           8
        .value_kind:     global_buffer
      - .offset:         56
        .size:           8
        .value_kind:     by_value
      - .offset:         64
        .size:           8
        .value_kind:     by_value
      - .offset:         72
        .size:           4
        .value_kind:     by_value
    .group_segment_fixed_size: 0
    .kernarg_segment_align: 8
    .kernarg_segment_size: 76
    .language:       OpenCL C
    .language_version:
      - 2
      - 0
    .max_flat_workgroup_size: 256
    .name:           _ZL22rocblas_saxpy_2_kernelILi256EfPKDF16_S1_PDF16_EviT1_lT2_llT3_lli
    .private_segment_fixed_size: 0
    .sgpr_count:     20
    .sgpr_spill_count: 0
    .symbol:         _ZL22rocblas_saxpy_2_kernelILi256EfPKDF16_S1_PDF16_EviT1_lT2_llT3_lli.kd
    .uniform_work_group_size: 1
    .uses_dynamic_stack: false
    .vgpr_count:     10
    .vgpr_spill_count: 0
    .wavefront_size: 32
    .workgroup_processor_mode: 1
  - .args:
      - .offset:         0
        .size:           4
        .value_kind:     by_value
      - .offset:         4
        .size:           2
        .value_kind:     by_value
      - .offset:         8
        .size:           8
        .value_kind:     by_value
      - .actual_access:  read_only
        .address_space:  global
        .offset:         16
        .size:           8
        .value_kind:     global_buffer
      - .offset:         24
        .size:           8
        .value_kind:     by_value
      - .offset:         32
        .size:           8
        .value_kind:     by_value
      - .address_space:  global
        .offset:         40
        .size:           8
        .value_kind:     global_buffer
      - .offset:         48
        .size:           8
        .value_kind:     by_value
      - .offset:         56
        .size:           8
        .value_kind:     by_value
      - .offset:         64
        .size:           4
        .value_kind:     by_value
    .group_segment_fixed_size: 0
    .kernarg_segment_align: 8
    .kernarg_segment_size: 68
    .language:       OpenCL C
    .language_version:
      - 2
      - 0
    .max_flat_workgroup_size: 256
    .name:           _ZL22rocblas_saxpy_2_kernelILi256EfDF16_PKDF16_PDF16_EviT1_lT2_llT3_lli
    .private_segment_fixed_size: 0
    .sgpr_count:     19
    .sgpr_spill_count: 0
    .symbol:         _ZL22rocblas_saxpy_2_kernelILi256EfDF16_PKDF16_PDF16_EviT1_lT2_llT3_lli.kd
    .uniform_work_group_size: 1
    .uses_dynamic_stack: false
    .vgpr_count:     9
    .vgpr_spill_count: 0
    .wavefront_size: 32
    .workgroup_processor_mode: 1
  - .args:
      - .offset:         0
        .size:           4
        .value_kind:     by_value
      - .address_space:  global
        .offset:         8
        .size:           8
        .value_kind:     global_buffer
      - .offset:         16
        .size:           8
        .value_kind:     by_value
      - .address_space:  global
        .offset:         24
        .size:           8
        .value_kind:     global_buffer
      - .offset:         32
        .size:           8
        .value_kind:     by_value
      - .offset:         40
        .size:           4
        .value_kind:     by_value
      - .offset:         48
        .size:           8
        .value_kind:     by_value
      - .address_space:  global
        .offset:         56
        .size:           8
        .value_kind:     global_buffer
      - .offset:         64
        .size:           8
        .value_kind:     by_value
      - .offset:         72
        .size:           4
        .value_kind:     by_value
      - .offset:         80
        .size:           8
        .value_kind:     by_value
      - .offset:         88
        .size:           4
        .value_kind:     by_value
    .group_segment_fixed_size: 0
    .kernarg_segment_align: 8
    .kernarg_segment_size: 92
    .language:       OpenCL C
    .language_version:
      - 2
      - 0
    .max_flat_workgroup_size: 1024
    .name:           _ZL27rocblas_axpy_kernel_batchedIiLi128ELi8EfPKDF16_S1_PDF16_EviT3_lT4_lT_lT5_lS5_li
    .private_segment_fixed_size: 0
    .sgpr_count:     22
    .sgpr_spill_count: 0
    .symbol:         _ZL27rocblas_axpy_kernel_batchedIiLi128ELi8EfPKDF16_S1_PDF16_EviT3_lT4_lT_lT5_lS5_li.kd
    .uniform_work_group_size: 1
    .uses_dynamic_stack: false
    .vgpr_count:     14
    .vgpr_spill_count: 0
    .wavefront_size: 32
    .workgroup_processor_mode: 1
  - .args:
      - .offset:         0
        .size:           4
        .value_kind:     by_value
      - .offset:         4
        .size:           2
        .value_kind:     by_value
      - .offset:         8
        .size:           8
        .value_kind:     by_value
      - .address_space:  global
        .offset:         16
        .size:           8
        .value_kind:     global_buffer
      - .offset:         24
        .size:           8
        .value_kind:     by_value
      - .offset:         32
        .size:           4
        .value_kind:     by_value
      - .offset:         40
        .size:           8
        .value_kind:     by_value
      - .address_space:  global
        .offset:         48
        .size:           8
        .value_kind:     global_buffer
      - .offset:         56
        .size:           8
        .value_kind:     by_value
      - .offset:         64
        .size:           4
        .value_kind:     by_value
      - .offset:         72
        .size:           8
        .value_kind:     by_value
      - .offset:         80
        .size:           4
        .value_kind:     by_value
    .group_segment_fixed_size: 0
    .kernarg_segment_align: 8
    .kernarg_segment_size: 84
    .language:       OpenCL C
    .language_version:
      - 2
      - 0
    .max_flat_workgroup_size: 1024
    .name:           _ZL27rocblas_axpy_kernel_batchedIiLi128ELi8EfDF16_PKDF16_PDF16_EviT3_lT4_lT_lT5_lS5_li
    .private_segment_fixed_size: 0
    .sgpr_count:     22
    .sgpr_spill_count: 0
    .symbol:         _ZL27rocblas_axpy_kernel_batchedIiLi128ELi8EfDF16_PKDF16_PDF16_EviT3_lT4_lT_lT5_lS5_li.kd
    .uniform_work_group_size: 1
    .uses_dynamic_stack: false
    .vgpr_count:     14
    .vgpr_spill_count: 0
    .wavefront_size: 32
    .workgroup_processor_mode: 1
  - .args:
      - .offset:         0
        .size:           4
        .value_kind:     by_value
      - .address_space:  global
        .offset:         8
        .size:           8
        .value_kind:     global_buffer
      - .offset:         16
        .size:           8
        .value_kind:     by_value
      - .actual_access:  read_only
        .address_space:  global
        .offset:         24
        .size:           8
        .value_kind:     global_buffer
      - .offset:         32
        .size:           8
        .value_kind:     by_value
      - .offset:         40
        .size:           4
        .value_kind:     by_value
      - .offset:         48
        .size:           8
        .value_kind:     by_value
      - .address_space:  global
        .offset:         56
        .size:           8
        .value_kind:     global_buffer
      - .offset:         64
        .size:           8
        .value_kind:     by_value
      - .offset:         72
        .size:           4
        .value_kind:     by_value
      - .offset:         80
        .size:           8
        .value_kind:     by_value
      - .offset:         88
        .size:           4
        .value_kind:     by_value
    .group_segment_fixed_size: 0
    .kernarg_segment_align: 8
    .kernarg_segment_size: 92
    .language:       OpenCL C
    .language_version:
      - 2
      - 0
    .max_flat_workgroup_size: 256
    .name:           _ZL19rocblas_axpy_kernelIiLi256EfPKDF16_S1_PDF16_EviT2_lT3_lT_lT4_lS5_li
    .private_segment_fixed_size: 0
    .sgpr_count:     19
    .sgpr_spill_count: 0
    .symbol:         _ZL19rocblas_axpy_kernelIiLi256EfPKDF16_S1_PDF16_EviT2_lT3_lT_lT4_lS5_li.kd
    .uniform_work_group_size: 1
    .uses_dynamic_stack: false
    .vgpr_count:     9
    .vgpr_spill_count: 0
    .wavefront_size: 32
    .workgroup_processor_mode: 1
  - .args:
      - .offset:         0
        .size:           4
        .value_kind:     by_value
      - .offset:         4
        .size:           2
        .value_kind:     by_value
      - .offset:         8
        .size:           8
        .value_kind:     by_value
      - .actual_access:  read_only
        .address_space:  global
        .offset:         16
        .size:           8
        .value_kind:     global_buffer
      - .offset:         24
        .size:           8
        .value_kind:     by_value
      - .offset:         32
        .size:           4
        .value_kind:     by_value
      - .offset:         40
        .size:           8
        .value_kind:     by_value
      - .address_space:  global
        .offset:         48
        .size:           8
        .value_kind:     global_buffer
      - .offset:         56
        .size:           8
        .value_kind:     by_value
      - .offset:         64
        .size:           4
        .value_kind:     by_value
      - .offset:         72
        .size:           8
        .value_kind:     by_value
      - .offset:         80
        .size:           4
        .value_kind:     by_value
    .group_segment_fixed_size: 0
    .kernarg_segment_align: 8
    .kernarg_segment_size: 84
    .language:       OpenCL C
    .language_version:
      - 2
      - 0
    .max_flat_workgroup_size: 256
    .name:           _ZL19rocblas_axpy_kernelIiLi256EfDF16_PKDF16_PDF16_EviT2_lT3_lT_lT4_lS5_li
    .private_segment_fixed_size: 0
    .sgpr_count:     20
    .sgpr_spill_count: 0
    .symbol:         _ZL19rocblas_axpy_kernelIiLi256EfDF16_PKDF16_PDF16_EviT2_lT3_lT_lT4_lS5_li.kd
    .uniform_work_group_size: 1
    .uses_dynamic_stack: false
    .vgpr_count:     8
    .vgpr_spill_count: 0
    .wavefront_size: 32
    .workgroup_processor_mode: 1
  - .args:
      - .offset:         0
        .size:           4
        .value_kind:     by_value
      - .address_space:  global
        .offset:         8
        .size:           8
        .value_kind:     global_buffer
      - .offset:         16
        .size:           8
        .value_kind:     by_value
      - .actual_access:  read_only
        .address_space:  global
        .offset:         24
        .size:           8
        .value_kind:     global_buffer
      - .offset:         32
        .size:           8
        .value_kind:     by_value
      - .offset:         40
        .size:           8
        .value_kind:     by_value
      - .offset:         48
        .size:           8
        .value_kind:     by_value
      - .address_space:  global
        .offset:         56
        .size:           8
        .value_kind:     global_buffer
      - .offset:         64
        .size:           8
        .value_kind:     by_value
      - .offset:         72
        .size:           8
        .value_kind:     by_value
      - .offset:         80
        .size:           8
        .value_kind:     by_value
      - .offset:         88
        .size:           4
        .value_kind:     by_value
    .group_segment_fixed_size: 0
    .kernarg_segment_align: 8
    .kernarg_segment_size: 92
    .language:       OpenCL C
    .language_version:
      - 2
      - 0
    .max_flat_workgroup_size: 256
    .name:           _ZL19rocblas_axpy_kernelIlLi256EfPKDF16_S1_PDF16_EviT2_lT3_lT_lT4_lS5_li
    .private_segment_fixed_size: 0
    .sgpr_count:     22
    .sgpr_spill_count: 0
    .symbol:         _ZL19rocblas_axpy_kernelIlLi256EfPKDF16_S1_PDF16_EviT2_lT3_lT_lT4_lS5_li.kd
    .uniform_work_group_size: 1
    .uses_dynamic_stack: false
    .vgpr_count:     9
    .vgpr_spill_count: 0
    .wavefront_size: 32
    .workgroup_processor_mode: 1
  - .args:
      - .offset:         0
        .size:           4
        .value_kind:     by_value
      - .offset:         4
        .size:           2
        .value_kind:     by_value
      - .offset:         8
        .size:           8
        .value_kind:     by_value
      - .actual_access:  read_only
        .address_space:  global
        .offset:         16
        .size:           8
        .value_kind:     global_buffer
      - .offset:         24
        .size:           8
        .value_kind:     by_value
      - .offset:         32
        .size:           8
        .value_kind:     by_value
      - .offset:         40
        .size:           8
        .value_kind:     by_value
      - .address_space:  global
        .offset:         48
        .size:           8
        .value_kind:     global_buffer
      - .offset:         56
        .size:           8
        .value_kind:     by_value
      - .offset:         64
        .size:           8
        .value_kind:     by_value
      - .offset:         72
        .size:           8
        .value_kind:     by_value
      - .offset:         80
        .size:           4
        .value_kind:     by_value
    .group_segment_fixed_size: 0
    .kernarg_segment_align: 8
    .kernarg_segment_size: 84
    .language:       OpenCL C
    .language_version:
      - 2
      - 0
    .max_flat_workgroup_size: 256
    .name:           _ZL19rocblas_axpy_kernelIlLi256EfDF16_PKDF16_PDF16_EviT2_lT3_lT_lT4_lS5_li
    .private_segment_fixed_size: 0
    .sgpr_count:     22
    .sgpr_spill_count: 0
    .symbol:         _ZL19rocblas_axpy_kernelIlLi256EfDF16_PKDF16_PDF16_EviT2_lT3_lT_lT4_lS5_li.kd
    .uniform_work_group_size: 1
    .uses_dynamic_stack: false
    .vgpr_count:     8
    .vgpr_spill_count: 0
    .wavefront_size: 32
    .workgroup_processor_mode: 1
  - .args:
      - .offset:         0
        .size:           4
        .value_kind:     by_value
      - .address_space:  global
        .offset:         8
        .size:           8
        .value_kind:     global_buffer
      - .offset:         16
        .size:           8
        .value_kind:     by_value
      - .address_space:  global
        .offset:         24
        .size:           8
        .value_kind:     global_buffer
      - .offset:         32
        .size:           8
        .value_kind:     by_value
      - .offset:         40
        .size:           8
        .value_kind:     by_value
      - .address_space:  global
        .offset:         48
        .size:           8
        .value_kind:     global_buffer
      - .offset:         56
        .size:           8
        .value_kind:     by_value
      - .offset:         64
        .size:           8
        .value_kind:     by_value
      - .offset:         72
        .size:           4
        .value_kind:     by_value
    .group_segment_fixed_size: 0
    .kernarg_segment_align: 8
    .kernarg_segment_size: 76
    .language:       OpenCL C
    .language_version:
      - 2
      - 0
    .max_flat_workgroup_size: 256
    .name:           _ZL26rocblas_haxpy_mod_8_kernelILi256EPKfPKDF16_PDF16_EviT0_lT1_llT2_lli
    .private_segment_fixed_size: 0
    .sgpr_count:     34
    .sgpr_spill_count: 0
    .symbol:         _ZL26rocblas_haxpy_mod_8_kernelILi256EPKfPKDF16_PDF16_EviT0_lT1_llT2_lli.kd
    .uniform_work_group_size: 1
    .uses_dynamic_stack: false
    .vgpr_count:     4
    .vgpr_spill_count: 0
    .wavefront_size: 32
    .workgroup_processor_mode: 1
  - .args:
      - .offset:         0
        .size:           4
        .value_kind:     by_value
      - .offset:         4
        .size:           4
        .value_kind:     by_value
      - .offset:         8
        .size:           8
        .value_kind:     by_value
      - .address_space:  global
        .offset:         16
        .size:           8
        .value_kind:     global_buffer
      - .offset:         24
        .size:           8
        .value_kind:     by_value
      - .offset:         32
        .size:           8
        .value_kind:     by_value
      - .address_space:  global
        .offset:         40
        .size:           8
        .value_kind:     global_buffer
      - .offset:         48
        .size:           8
        .value_kind:     by_value
      - .offset:         56
        .size:           8
        .value_kind:     by_value
      - .offset:         64
        .size:           4
        .value_kind:     by_value
    .group_segment_fixed_size: 0
    .kernarg_segment_align: 8
    .kernarg_segment_size: 68
    .language:       OpenCL C
    .language_version:
      - 2
      - 0
    .max_flat_workgroup_size: 256
    .name:           _ZL26rocblas_haxpy_mod_8_kernelILi256EfPKDF16_PDF16_EviT0_lT1_llT2_lli
    .private_segment_fixed_size: 0
    .sgpr_count:     22
    .sgpr_spill_count: 0
    .symbol:         _ZL26rocblas_haxpy_mod_8_kernelILi256EfPKDF16_PDF16_EviT0_lT1_llT2_lli.kd
    .uniform_work_group_size: 1
    .uses_dynamic_stack: false
    .vgpr_count:     4
    .vgpr_spill_count: 0
    .wavefront_size: 32
    .workgroup_processor_mode: 1
  - .args:
      - .offset:         0
        .size:           4
        .value_kind:     by_value
      - .address_space:  global
        .offset:         8
        .size:           8
        .value_kind:     global_buffer
      - .offset:         16
        .size:           8
        .value_kind:     by_value
      - .actual_access:  read_only
        .address_space:  global
        .offset:         24
        .size:           8
        .value_kind:     global_buffer
      - .offset:         32
        .size:           8
        .value_kind:     by_value
      - .offset:         40
        .size:           8
        .value_kind:     by_value
      - .address_space:  global
        .offset:         48
        .size:           8
        .value_kind:     global_buffer
      - .offset:         56
        .size:           8
        .value_kind:     by_value
      - .offset:         64
        .size:           8
        .value_kind:     by_value
      - .offset:         72
        .size:           4
        .value_kind:     by_value
    .group_segment_fixed_size: 0
    .kernarg_segment_align: 8
    .kernarg_segment_size: 76
    .language:       OpenCL C
    .language_version:
      - 2
      - 0
    .max_flat_workgroup_size: 256
    .name:           _ZL22rocblas_saxpy_2_kernelILi256EfPKfPKDF16_PDF16_EviT1_lT2_llT3_lli
    .private_segment_fixed_size: 0
    .sgpr_count:     20
    .sgpr_spill_count: 0
    .symbol:         _ZL22rocblas_saxpy_2_kernelILi256EfPKfPKDF16_PDF16_EviT1_lT2_llT3_lli.kd
    .uniform_work_group_size: 1
    .uses_dynamic_stack: false
    .vgpr_count:     9
    .vgpr_spill_count: 0
    .wavefront_size: 32
    .workgroup_processor_mode: 1
  - .args:
      - .offset:         0
        .size:           4
        .value_kind:     by_value
      - .offset:         4
        .size:           4
        .value_kind:     by_value
      - .offset:         8
        .size:           8
        .value_kind:     by_value
      - .actual_access:  read_only
        .address_space:  global
        .offset:         16
        .size:           8
        .value_kind:     global_buffer
      - .offset:         24
        .size:           8
        .value_kind:     by_value
      - .offset:         32
        .size:           8
        .value_kind:     by_value
      - .address_space:  global
        .offset:         40
        .size:           8
        .value_kind:     global_buffer
      - .offset:         48
        .size:           8
        .value_kind:     by_value
      - .offset:         56
        .size:           8
        .value_kind:     by_value
      - .offset:         64
        .size:           4
        .value_kind:     by_value
    .group_segment_fixed_size: 0
    .kernarg_segment_align: 8
    .kernarg_segment_size: 68
    .language:       OpenCL C
    .language_version:
      - 2
      - 0
    .max_flat_workgroup_size: 256
    .name:           _ZL22rocblas_saxpy_2_kernelILi256EffPKDF16_PDF16_EviT1_lT2_llT3_lli
    .private_segment_fixed_size: 0
    .sgpr_count:     19
    .sgpr_spill_count: 0
    .symbol:         _ZL22rocblas_saxpy_2_kernelILi256EffPKDF16_PDF16_EviT1_lT2_llT3_lli.kd
    .uniform_work_group_size: 1
    .uses_dynamic_stack: false
    .vgpr_count:     9
    .vgpr_spill_count: 0
    .wavefront_size: 32
    .workgroup_processor_mode: 1
  - .args:
      - .offset:         0
        .size:           4
        .value_kind:     by_value
      - .address_space:  global
        .offset:         8
        .size:           8
        .value_kind:     global_buffer
      - .offset:         16
        .size:           8
        .value_kind:     by_value
      - .address_space:  global
        .offset:         24
        .size:           8
        .value_kind:     global_buffer
      - .offset:         32
        .size:           8
        .value_kind:     by_value
      - .offset:         40
        .size:           4
        .value_kind:     by_value
      - .offset:         48
        .size:           8
        .value_kind:     by_value
      - .address_space:  global
        .offset:         56
        .size:           8
        .value_kind:     global_buffer
      - .offset:         64
        .size:           8
        .value_kind:     by_value
      - .offset:         72
        .size:           4
        .value_kind:     by_value
      - .offset:         80
        .size:           8
        .value_kind:     by_value
      - .offset:         88
        .size:           4
        .value_kind:     by_value
    .group_segment_fixed_size: 0
    .kernarg_segment_align: 8
    .kernarg_segment_size: 92
    .language:       OpenCL C
    .language_version:
      - 2
      - 0
    .max_flat_workgroup_size: 1024
    .name:           _ZL27rocblas_axpy_kernel_batchedIiLi128ELi8EfPKfPKDF16_PDF16_EviT3_lT4_lT_lT5_lS7_li
    .private_segment_fixed_size: 0
    .sgpr_count:     22
    .sgpr_spill_count: 0
    .symbol:         _ZL27rocblas_axpy_kernel_batchedIiLi128ELi8EfPKfPKDF16_PDF16_EviT3_lT4_lT_lT5_lS7_li.kd
    .uniform_work_group_size: 1
    .uses_dynamic_stack: false
    .vgpr_count:     14
    .vgpr_spill_count: 0
    .wavefront_size: 32
    .workgroup_processor_mode: 1
  - .args:
      - .offset:         0
        .size:           4
        .value_kind:     by_value
      - .offset:         4
        .size:           4
        .value_kind:     by_value
      - .offset:         8
        .size:           8
        .value_kind:     by_value
      - .address_space:  global
        .offset:         16
        .size:           8
        .value_kind:     global_buffer
      - .offset:         24
        .size:           8
        .value_kind:     by_value
      - .offset:         32
        .size:           4
        .value_kind:     by_value
      - .offset:         40
        .size:           8
        .value_kind:     by_value
      - .address_space:  global
        .offset:         48
        .size:           8
        .value_kind:     global_buffer
      - .offset:         56
        .size:           8
        .value_kind:     by_value
      - .offset:         64
        .size:           4
        .value_kind:     by_value
      - .offset:         72
        .size:           8
        .value_kind:     by_value
      - .offset:         80
        .size:           4
        .value_kind:     by_value
    .group_segment_fixed_size: 0
    .kernarg_segment_align: 8
    .kernarg_segment_size: 84
    .language:       OpenCL C
    .language_version:
      - 2
      - 0
    .max_flat_workgroup_size: 1024
    .name:           _ZL27rocblas_axpy_kernel_batchedIiLi128ELi8EffPKDF16_PDF16_EviT3_lT4_lT_lT5_lS5_li
    .private_segment_fixed_size: 0
    .sgpr_count:     22
    .sgpr_spill_count: 0
    .symbol:         _ZL27rocblas_axpy_kernel_batchedIiLi128ELi8EffPKDF16_PDF16_EviT3_lT4_lT_lT5_lS5_li.kd
    .uniform_work_group_size: 1
    .uses_dynamic_stack: false
    .vgpr_count:     13
    .vgpr_spill_count: 0
    .wavefront_size: 32
    .workgroup_processor_mode: 1
  - .args:
      - .offset:         0
        .size:           4
        .value_kind:     by_value
      - .address_space:  global
        .offset:         8
        .size:           8
        .value_kind:     global_buffer
      - .offset:         16
        .size:           8
        .value_kind:     by_value
      - .actual_access:  read_only
        .address_space:  global
        .offset:         24
        .size:           8
        .value_kind:     global_buffer
      - .offset:         32
        .size:           8
        .value_kind:     by_value
      - .offset:         40
        .size:           4
        .value_kind:     by_value
      - .offset:         48
        .size:           8
        .value_kind:     by_value
      - .address_space:  global
        .offset:         56
        .size:           8
        .value_kind:     global_buffer
      - .offset:         64
        .size:           8
        .value_kind:     by_value
      - .offset:         72
        .size:           4
        .value_kind:     by_value
      - .offset:         80
        .size:           8
        .value_kind:     by_value
      - .offset:         88
        .size:           4
        .value_kind:     by_value
    .group_segment_fixed_size: 0
    .kernarg_segment_align: 8
    .kernarg_segment_size: 92
    .language:       OpenCL C
    .language_version:
      - 2
      - 0
    .max_flat_workgroup_size: 256
    .name:           _ZL19rocblas_axpy_kernelIiLi256EfPKfPKDF16_PDF16_EviT2_lT3_lT_lT4_lS7_li
    .private_segment_fixed_size: 0
    .sgpr_count:     20
    .sgpr_spill_count: 0
    .symbol:         _ZL19rocblas_axpy_kernelIiLi256EfPKfPKDF16_PDF16_EviT2_lT3_lT_lT4_lS7_li.kd
    .uniform_work_group_size: 1
    .uses_dynamic_stack: false
    .vgpr_count:     8
    .vgpr_spill_count: 0
    .wavefront_size: 32
    .workgroup_processor_mode: 1
  - .args:
      - .offset:         0
        .size:           4
        .value_kind:     by_value
      - .offset:         4
        .size:           4
        .value_kind:     by_value
      - .offset:         8
        .size:           8
        .value_kind:     by_value
      - .actual_access:  read_only
        .address_space:  global
        .offset:         16
        .size:           8
        .value_kind:     global_buffer
      - .offset:         24
        .size:           8
        .value_kind:     by_value
      - .offset:         32
        .size:           4
        .value_kind:     by_value
      - .offset:         40
        .size:           8
        .value_kind:     by_value
      - .address_space:  global
        .offset:         48
        .size:           8
        .value_kind:     global_buffer
      - .offset:         56
        .size:           8
        .value_kind:     by_value
      - .offset:         64
        .size:           4
        .value_kind:     by_value
      - .offset:         72
        .size:           8
        .value_kind:     by_value
      - .offset:         80
        .size:           4
        .value_kind:     by_value
    .group_segment_fixed_size: 0
    .kernarg_segment_align: 8
    .kernarg_segment_size: 84
    .language:       OpenCL C
    .language_version:
      - 2
      - 0
    .max_flat_workgroup_size: 256
    .name:           _ZL19rocblas_axpy_kernelIiLi256EffPKDF16_PDF16_EviT2_lT3_lT_lT4_lS5_li
    .private_segment_fixed_size: 0
    .sgpr_count:     20
    .sgpr_spill_count: 0
    .symbol:         _ZL19rocblas_axpy_kernelIiLi256EffPKDF16_PDF16_EviT2_lT3_lT_lT4_lS5_li.kd
    .uniform_work_group_size: 1
    .uses_dynamic_stack: false
    .vgpr_count:     8
    .vgpr_spill_count: 0
    .wavefront_size: 32
    .workgroup_processor_mode: 1
  - .args:
      - .offset:         0
        .size:           4
        .value_kind:     by_value
      - .address_space:  global
        .offset:         8
        .size:           8
        .value_kind:     global_buffer
      - .offset:         16
        .size:           8
        .value_kind:     by_value
      - .actual_access:  read_only
        .address_space:  global
        .offset:         24
        .size:           8
        .value_kind:     global_buffer
      - .offset:         32
        .size:           8
        .value_kind:     by_value
      - .offset:         40
        .size:           8
        .value_kind:     by_value
      - .offset:         48
        .size:           8
        .value_kind:     by_value
      - .address_space:  global
        .offset:         56
        .size:           8
        .value_kind:     global_buffer
      - .offset:         64
        .size:           8
        .value_kind:     by_value
      - .offset:         72
        .size:           8
        .value_kind:     by_value
      - .offset:         80
        .size:           8
        .value_kind:     by_value
      - .offset:         88
        .size:           4
        .value_kind:     by_value
    .group_segment_fixed_size: 0
    .kernarg_segment_align: 8
    .kernarg_segment_size: 92
    .language:       OpenCL C
    .language_version:
      - 2
      - 0
    .max_flat_workgroup_size: 256
    .name:           _ZL19rocblas_axpy_kernelIlLi256EfPKfPKDF16_PDF16_EviT2_lT3_lT_lT4_lS7_li
    .private_segment_fixed_size: 0
    .sgpr_count:     22
    .sgpr_spill_count: 0
    .symbol:         _ZL19rocblas_axpy_kernelIlLi256EfPKfPKDF16_PDF16_EviT2_lT3_lT_lT4_lS7_li.kd
    .uniform_work_group_size: 1
    .uses_dynamic_stack: false
    .vgpr_count:     8
    .vgpr_spill_count: 0
    .wavefront_size: 32
    .workgroup_processor_mode: 1
  - .args:
      - .offset:         0
        .size:           4
        .value_kind:     by_value
      - .offset:         4
        .size:           4
        .value_kind:     by_value
      - .offset:         8
        .size:           8
        .value_kind:     by_value
      - .actual_access:  read_only
        .address_space:  global
        .offset:         16
        .size:           8
        .value_kind:     global_buffer
      - .offset:         24
        .size:           8
        .value_kind:     by_value
      - .offset:         32
        .size:           8
        .value_kind:     by_value
      - .offset:         40
        .size:           8
        .value_kind:     by_value
      - .address_space:  global
        .offset:         48
        .size:           8
        .value_kind:     global_buffer
      - .offset:         56
        .size:           8
        .value_kind:     by_value
      - .offset:         64
        .size:           8
        .value_kind:     by_value
      - .offset:         72
        .size:           8
        .value_kind:     by_value
      - .offset:         80
        .size:           4
        .value_kind:     by_value
    .group_segment_fixed_size: 0
    .kernarg_segment_align: 8
    .kernarg_segment_size: 84
    .language:       OpenCL C
    .language_version:
      - 2
      - 0
    .max_flat_workgroup_size: 256
    .name:           _ZL19rocblas_axpy_kernelIlLi256EffPKDF16_PDF16_EviT2_lT3_lT_lT4_lS5_li
    .private_segment_fixed_size: 0
    .sgpr_count:     22
    .sgpr_spill_count: 0
    .symbol:         _ZL19rocblas_axpy_kernelIlLi256EffPKDF16_PDF16_EviT2_lT3_lT_lT4_lS5_li.kd
    .uniform_work_group_size: 1
    .uses_dynamic_stack: false
    .vgpr_count:     8
    .vgpr_spill_count: 0
    .wavefront_size: 32
    .workgroup_processor_mode: 1
  - .args:
      - .offset:         0
        .size:           4
        .value_kind:     by_value
      - .address_space:  global
        .offset:         8
        .size:           8
        .value_kind:     global_buffer
      - .offset:         16
        .size:           8
        .value_kind:     by_value
      - .address_space:  global
        .offset:         24
        .size:           8
        .value_kind:     global_buffer
      - .offset:         32
        .size:           8
        .value_kind:     by_value
      - .offset:         40
        .size:           8
        .value_kind:     by_value
      - .address_space:  global
        .offset:         48
        .size:           8
        .value_kind:     global_buffer
      - .offset:         56
        .size:           8
        .value_kind:     by_value
      - .offset:         64
        .size:           8
        .value_kind:     by_value
      - .offset:         72
        .size:           4
        .value_kind:     by_value
    .group_segment_fixed_size: 0
    .kernarg_segment_align: 8
    .kernarg_segment_size: 76
    .language:       OpenCL C
    .language_version:
      - 2
      - 0
    .max_flat_workgroup_size: 256
    .name:           _ZL26rocblas_haxpy_mlt_8_kernelILi256EPKDF16_PKPK16rocblas_bfloat16PKPS2_EviT0_lT1_llT2_lli
    .private_segment_fixed_size: 0
    .sgpr_count:     18
    .sgpr_spill_count: 0
    .symbol:         _ZL26rocblas_haxpy_mlt_8_kernelILi256EPKDF16_PKPK16rocblas_bfloat16PKPS2_EviT0_lT1_llT2_lli.kd
    .uniform_work_group_size: 1
    .uses_dynamic_stack: false
    .vgpr_count:     11
    .vgpr_spill_count: 0
    .wavefront_size: 32
    .workgroup_processor_mode: 1
  - .args:
      - .offset:         0
        .size:           4
        .value_kind:     by_value
      - .address_space:  global
        .offset:         8
        .size:           8
        .value_kind:     global_buffer
      - .offset:         16
        .size:           8
        .value_kind:     by_value
      - .address_space:  global
        .offset:         24
        .size:           8
        .value_kind:     global_buffer
      - .offset:         32
        .size:           8
        .value_kind:     by_value
      - .offset:         40
        .size:           8
        .value_kind:     by_value
      - .address_space:  global
        .offset:         48
        .size:           8
        .value_kind:     global_buffer
      - .offset:         56
        .size:           8
        .value_kind:     by_value
      - .offset:         64
        .size:           8
        .value_kind:     by_value
      - .offset:         72
        .size:           4
        .value_kind:     by_value
    .group_segment_fixed_size: 0
    .kernarg_segment_align: 8
    .kernarg_segment_size: 76
    .language:       OpenCL C
    .language_version:
      - 2
      - 0
    .max_flat_workgroup_size: 256
    .name:           _ZL26rocblas_haxpy_mod_8_kernelILi256EPK16rocblas_bfloat16PKS2_PKPS0_EviT0_lT1_llT2_lli
    .private_segment_fixed_size: 0
    .sgpr_count:     18
    .sgpr_spill_count: 0
    .symbol:         _ZL26rocblas_haxpy_mod_8_kernelILi256EPK16rocblas_bfloat16PKS2_PKPS0_EviT0_lT1_llT2_lli.kd
    .uniform_work_group_size: 1
    .uses_dynamic_stack: false
    .vgpr_count:     5
    .vgpr_spill_count: 0
    .wavefront_size: 32
    .workgroup_processor_mode: 1
  - .args:
      - .offset:         0
        .size:           4
        .value_kind:     by_value
      - .offset:         4
        .size:           2
        .value_kind:     by_value
      - .offset:         8
        .size:           8
        .value_kind:     by_value
      - .address_space:  global
        .offset:         16
        .size:           8
        .value_kind:     global_buffer
      - .offset:         24
        .size:           8
        .value_kind:     by_value
      - .offset:         32
        .size:           8
        .value_kind:     by_value
      - .address_space:  global
        .offset:         40
        .size:           8
        .value_kind:     global_buffer
      - .offset:         48
        .size:           8
        .value_kind:     by_value
      - .offset:         56
        .size:           8
        .value_kind:     by_value
      - .offset:         64
        .size:           4
        .value_kind:     by_value
    .group_segment_fixed_size: 0
    .kernarg_segment_align: 8
    .kernarg_segment_size: 68
    .language:       OpenCL C
    .language_version:
      - 2
      - 0
    .max_flat_workgroup_size: 256
    .name:           _ZL26rocblas_haxpy_mlt_8_kernelILi256EDF16_PKPK16rocblas_bfloat16PKPS0_EviT0_lT1_llT2_lli
    .private_segment_fixed_size: 0
    .sgpr_count:     18
    .sgpr_spill_count: 0
    .symbol:         _ZL26rocblas_haxpy_mlt_8_kernelILi256EDF16_PKPK16rocblas_bfloat16PKPS0_EviT0_lT1_llT2_lli.kd
    .uniform_work_group_size: 1
    .uses_dynamic_stack: false
    .vgpr_count:     10
    .vgpr_spill_count: 0
    .wavefront_size: 32
    .workgroup_processor_mode: 1
  - .args:
      - .offset:         0
        .size:           4
        .value_kind:     by_value
      - .offset:         4
        .size:           2
        .value_kind:     by_value
      - .offset:         8
        .size:           8
        .value_kind:     by_value
      - .address_space:  global
        .offset:         16
        .size:           8
        .value_kind:     global_buffer
      - .offset:         24
        .size:           8
        .value_kind:     by_value
      - .offset:         32
        .size:           8
        .value_kind:     by_value
      - .address_space:  global
        .offset:         40
        .size:           8
        .value_kind:     global_buffer
      - .offset:         48
        .size:           8
        .value_kind:     by_value
      - .offset:         56
        .size:           8
        .value_kind:     by_value
      - .offset:         64
        .size:           4
        .value_kind:     by_value
    .group_segment_fixed_size: 0
    .kernarg_segment_align: 8
    .kernarg_segment_size: 68
    .language:       OpenCL C
    .language_version:
      - 2
      - 0
    .max_flat_workgroup_size: 256
    .name:           _ZL26rocblas_haxpy_mod_8_kernelILi256E16rocblas_bfloat16PKPKS0_PKPS0_EviT0_lT1_llT2_lli
    .private_segment_fixed_size: 0
    .sgpr_count:     18
    .sgpr_spill_count: 0
    .symbol:         _ZL26rocblas_haxpy_mod_8_kernelILi256E16rocblas_bfloat16PKPKS0_PKPS0_EviT0_lT1_llT2_lli.kd
    .uniform_work_group_size: 1
    .uses_dynamic_stack: false
    .vgpr_count:     5
    .vgpr_spill_count: 0
    .wavefront_size: 32
    .workgroup_processor_mode: 1
  - .args:
      - .offset:         0
        .size:           4
        .value_kind:     by_value
      - .address_space:  global
        .offset:         8
        .size:           8
        .value_kind:     global_buffer
      - .offset:         16
        .size:           8
        .value_kind:     by_value
      - .actual_access:  read_only
        .address_space:  global
        .offset:         24
        .size:           8
        .value_kind:     global_buffer
      - .offset:         32
        .size:           8
        .value_kind:     by_value
      - .offset:         40
        .size:           8
        .value_kind:     by_value
      - .actual_access:  read_only
        .address_space:  global
        .offset:         48
        .size:           8
        .value_kind:     global_buffer
      - .offset:         56
        .size:           8
        .value_kind:     by_value
      - .offset:         64
        .size:           8
        .value_kind:     by_value
      - .offset:         72
        .size:           4
        .value_kind:     by_value
    .group_segment_fixed_size: 0
    .kernarg_segment_align: 8
    .kernarg_segment_size: 76
    .language:       OpenCL C
    .language_version:
      - 2
      - 0
    .max_flat_workgroup_size: 256
    .name:           _ZL22rocblas_saxpy_2_kernelILi256EfPK16rocblas_bfloat16PKS2_PKPS0_EviT1_lT2_llT3_lli
    .private_segment_fixed_size: 0
    .sgpr_count:     22
    .sgpr_spill_count: 0
    .symbol:         _ZL22rocblas_saxpy_2_kernelILi256EfPK16rocblas_bfloat16PKS2_PKPS0_EviT1_lT2_llT3_lli.kd
    .uniform_work_group_size: 1
    .uses_dynamic_stack: false
    .vgpr_count:     13
    .vgpr_spill_count: 0
    .wavefront_size: 32
    .workgroup_processor_mode: 1
  - .args:
      - .offset:         0
        .size:           4
        .value_kind:     by_value
      - .offset:         4
        .size:           2
        .value_kind:     by_value
      - .offset:         8
        .size:           8
        .value_kind:     by_value
      - .actual_access:  read_only
        .address_space:  global
        .offset:         16
        .size:           8
        .value_kind:     global_buffer
      - .offset:         24
        .size:           8
        .value_kind:     by_value
      - .offset:         32
        .size:           8
        .value_kind:     by_value
      - .actual_access:  read_only
        .address_space:  global
        .offset:         40
        .size:           8
        .value_kind:     global_buffer
      - .offset:         48
        .size:           8
        .value_kind:     by_value
      - .offset:         56
        .size:           8
        .value_kind:     by_value
      - .offset:         64
        .size:           4
        .value_kind:     by_value
    .group_segment_fixed_size: 0
    .kernarg_segment_align: 8
    .kernarg_segment_size: 68
    .language:       OpenCL C
    .language_version:
      - 2
      - 0
    .max_flat_workgroup_size: 256
    .name:           _ZL22rocblas_saxpy_2_kernelILi256Ef16rocblas_bfloat16PKPKS0_PKPS0_EviT1_lT2_llT3_lli
    .private_segment_fixed_size: 0
    .sgpr_count:     22
    .sgpr_spill_count: 0
    .symbol:         _ZL22rocblas_saxpy_2_kernelILi256Ef16rocblas_bfloat16PKPKS0_PKPS0_EviT1_lT2_llT3_lli.kd
    .uniform_work_group_size: 1
    .uses_dynamic_stack: false
    .vgpr_count:     12
    .vgpr_spill_count: 0
    .wavefront_size: 32
    .workgroup_processor_mode: 1
  - .args:
      - .offset:         0
        .size:           4
        .value_kind:     by_value
      - .address_space:  global
        .offset:         8
        .size:           8
        .value_kind:     global_buffer
      - .offset:         16
        .size:           8
        .value_kind:     by_value
      - .address_space:  global
        .offset:         24
        .size:           8
        .value_kind:     global_buffer
      - .offset:         32
        .size:           8
        .value_kind:     by_value
      - .offset:         40
        .size:           4
        .value_kind:     by_value
      - .offset:         48
        .size:           8
        .value_kind:     by_value
      - .address_space:  global
        .offset:         56
        .size:           8
        .value_kind:     global_buffer
      - .offset:         64
        .size:           8
        .value_kind:     by_value
      - .offset:         72
        .size:           4
        .value_kind:     by_value
      - .offset:         80
        .size:           8
        .value_kind:     by_value
      - .offset:         88
        .size:           4
        .value_kind:     by_value
    .group_segment_fixed_size: 0
    .kernarg_segment_align: 8
    .kernarg_segment_size: 92
    .language:       OpenCL C
    .language_version:
      - 2
      - 0
    .max_flat_workgroup_size: 1024
    .name:           _ZL27rocblas_axpy_kernel_batchedIiLi128ELi8EfPK16rocblas_bfloat16PKS2_PKPS0_EviT3_lT4_lT_lT5_lSA_li
    .private_segment_fixed_size: 0
    .sgpr_count:     18
    .sgpr_spill_count: 0
    .symbol:         _ZL27rocblas_axpy_kernel_batchedIiLi128ELi8EfPK16rocblas_bfloat16PKS2_PKPS0_EviT3_lT4_lT_lT5_lSA_li.kd
    .uniform_work_group_size: 1
    .uses_dynamic_stack: false
    .vgpr_count:     12
    .vgpr_spill_count: 0
    .wavefront_size: 32
    .workgroup_processor_mode: 1
  - .args:
      - .offset:         0
        .size:           4
        .value_kind:     by_value
      - .offset:         4
        .size:           2
        .value_kind:     by_value
      - .offset:         8
        .size:           8
        .value_kind:     by_value
      - .address_space:  global
        .offset:         16
        .size:           8
        .value_kind:     global_buffer
      - .offset:         24
        .size:           8
        .value_kind:     by_value
      - .offset:         32
        .size:           4
        .value_kind:     by_value
      - .offset:         40
        .size:           8
        .value_kind:     by_value
      - .address_space:  global
        .offset:         48
        .size:           8
        .value_kind:     global_buffer
      - .offset:         56
        .size:           8
        .value_kind:     by_value
      - .offset:         64
        .size:           4
        .value_kind:     by_value
      - .offset:         72
        .size:           8
        .value_kind:     by_value
      - .offset:         80
        .size:           4
        .value_kind:     by_value
    .group_segment_fixed_size: 0
    .kernarg_segment_align: 8
    .kernarg_segment_size: 84
    .language:       OpenCL C
    .language_version:
      - 2
      - 0
    .max_flat_workgroup_size: 1024
    .name:           _ZL27rocblas_axpy_kernel_batchedIiLi128ELi8Ef16rocblas_bfloat16PKPKS0_PKPS0_EviT3_lT4_lT_lT5_lSA_li
    .private_segment_fixed_size: 0
    .sgpr_count:     18
    .sgpr_spill_count: 0
    .symbol:         _ZL27rocblas_axpy_kernel_batchedIiLi128ELi8Ef16rocblas_bfloat16PKPKS0_PKPS0_EviT3_lT4_lT_lT5_lSA_li.kd
    .uniform_work_group_size: 1
    .uses_dynamic_stack: false
    .vgpr_count:     11
    .vgpr_spill_count: 0
    .wavefront_size: 32
    .workgroup_processor_mode: 1
  - .args:
      - .offset:         0
        .size:           4
        .value_kind:     by_value
      - .address_space:  global
        .offset:         8
        .size:           8
        .value_kind:     global_buffer
      - .offset:         16
        .size:           8
        .value_kind:     by_value
      - .actual_access:  read_only
        .address_space:  global
        .offset:         24
        .size:           8
        .value_kind:     global_buffer
      - .offset:         32
        .size:           8
        .value_kind:     by_value
      - .offset:         40
        .size:           4
        .value_kind:     by_value
      - .offset:         48
        .size:           8
        .value_kind:     by_value
      - .actual_access:  read_only
        .address_space:  global
        .offset:         56
        .size:           8
        .value_kind:     global_buffer
      - .offset:         64
        .size:           8
        .value_kind:     by_value
      - .offset:         72
        .size:           4
        .value_kind:     by_value
      - .offset:         80
        .size:           8
        .value_kind:     by_value
      - .offset:         88
        .size:           4
        .value_kind:     by_value
    .group_segment_fixed_size: 0
    .kernarg_segment_align: 8
    .kernarg_segment_size: 92
    .language:       OpenCL C
    .language_version:
      - 2
      - 0
    .max_flat_workgroup_size: 256
    .name:           _ZL19rocblas_axpy_kernelIiLi256EfPK16rocblas_bfloat16PKS2_PKPS0_EviT2_lT3_lT_lT4_lSA_li
    .private_segment_fixed_size: 0
    .sgpr_count:     18
    .sgpr_spill_count: 0
    .symbol:         _ZL19rocblas_axpy_kernelIiLi256EfPK16rocblas_bfloat16PKS2_PKPS0_EviT2_lT3_lT_lT4_lSA_li.kd
    .uniform_work_group_size: 1
    .uses_dynamic_stack: false
    .vgpr_count:     8
    .vgpr_spill_count: 0
    .wavefront_size: 32
    .workgroup_processor_mode: 1
  - .args:
      - .offset:         0
        .size:           4
        .value_kind:     by_value
      - .offset:         4
        .size:           2
        .value_kind:     by_value
      - .offset:         8
        .size:           8
        .value_kind:     by_value
      - .actual_access:  read_only
        .address_space:  global
        .offset:         16
        .size:           8
        .value_kind:     global_buffer
      - .offset:         24
        .size:           8
        .value_kind:     by_value
      - .offset:         32
        .size:           4
        .value_kind:     by_value
      - .offset:         40
        .size:           8
        .value_kind:     by_value
      - .actual_access:  read_only
        .address_space:  global
        .offset:         48
        .size:           8
        .value_kind:     global_buffer
      - .offset:         56
        .size:           8
        .value_kind:     by_value
      - .offset:         64
        .size:           4
        .value_kind:     by_value
      - .offset:         72
        .size:           8
        .value_kind:     by_value
      - .offset:         80
        .size:           4
        .value_kind:     by_value
    .group_segment_fixed_size: 0
    .kernarg_segment_align: 8
    .kernarg_segment_size: 84
    .language:       OpenCL C
    .language_version:
      - 2
      - 0
    .max_flat_workgroup_size: 256
    .name:           _ZL19rocblas_axpy_kernelIiLi256Ef16rocblas_bfloat16PKPKS0_PKPS0_EviT2_lT3_lT_lT4_lSA_li
    .private_segment_fixed_size: 0
    .sgpr_count:     18
    .sgpr_spill_count: 0
    .symbol:         _ZL19rocblas_axpy_kernelIiLi256Ef16rocblas_bfloat16PKPKS0_PKPS0_EviT2_lT3_lT_lT4_lSA_li.kd
    .uniform_work_group_size: 1
    .uses_dynamic_stack: false
    .vgpr_count:     7
    .vgpr_spill_count: 0
    .wavefront_size: 32
    .workgroup_processor_mode: 1
  - .args:
      - .offset:         0
        .size:           4
        .value_kind:     by_value
      - .address_space:  global
        .offset:         8
        .size:           8
        .value_kind:     global_buffer
      - .offset:         16
        .size:           8
        .value_kind:     by_value
      - .actual_access:  read_only
        .address_space:  global
        .offset:         24
        .size:           8
        .value_kind:     global_buffer
      - .offset:         32
        .size:           8
        .value_kind:     by_value
      - .offset:         40
        .size:           8
        .value_kind:     by_value
      - .offset:         48
        .size:           8
        .value_kind:     by_value
      - .actual_access:  read_only
        .address_space:  global
        .offset:         56
        .size:           8
        .value_kind:     global_buffer
      - .offset:         64
        .size:           8
        .value_kind:     by_value
      - .offset:         72
        .size:           8
        .value_kind:     by_value
      - .offset:         80
        .size:           8
        .value_kind:     by_value
      - .offset:         88
        .size:           4
        .value_kind:     by_value
    .group_segment_fixed_size: 0
    .kernarg_segment_align: 8
    .kernarg_segment_size: 92
    .language:       OpenCL C
    .language_version:
      - 2
      - 0
    .max_flat_workgroup_size: 256
    .name:           _ZL19rocblas_axpy_kernelIlLi256EfPK16rocblas_bfloat16PKS2_PKPS0_EviT2_lT3_lT_lT4_lSA_li
    .private_segment_fixed_size: 0
    .sgpr_count:     18
    .sgpr_spill_count: 0
    .symbol:         _ZL19rocblas_axpy_kernelIlLi256EfPK16rocblas_bfloat16PKS2_PKPS0_EviT2_lT3_lT_lT4_lSA_li.kd
    .uniform_work_group_size: 1
    .uses_dynamic_stack: false
    .vgpr_count:     8
    .vgpr_spill_count: 0
    .wavefront_size: 32
    .workgroup_processor_mode: 1
  - .args:
      - .offset:         0
        .size:           4
        .value_kind:     by_value
      - .offset:         4
        .size:           2
        .value_kind:     by_value
      - .offset:         8
        .size:           8
        .value_kind:     by_value
      - .actual_access:  read_only
        .address_space:  global
        .offset:         16
        .size:           8
        .value_kind:     global_buffer
      - .offset:         24
        .size:           8
        .value_kind:     by_value
      - .offset:         32
        .size:           8
        .value_kind:     by_value
      - .offset:         40
        .size:           8
        .value_kind:     by_value
      - .actual_access:  read_only
        .address_space:  global
        .offset:         48
        .size:           8
        .value_kind:     global_buffer
      - .offset:         56
        .size:           8
        .value_kind:     by_value
      - .offset:         64
        .size:           8
        .value_kind:     by_value
      - .offset:         72
        .size:           8
        .value_kind:     by_value
      - .offset:         80
        .size:           4
        .value_kind:     by_value
    .group_segment_fixed_size: 0
    .kernarg_segment_align: 8
    .kernarg_segment_size: 84
    .language:       OpenCL C
    .language_version:
      - 2
      - 0
    .max_flat_workgroup_size: 256
    .name:           _ZL19rocblas_axpy_kernelIlLi256Ef16rocblas_bfloat16PKPKS0_PKPS0_EviT2_lT3_lT_lT4_lSA_li
    .private_segment_fixed_size: 0
    .sgpr_count:     19
    .sgpr_spill_count: 0
    .symbol:         _ZL19rocblas_axpy_kernelIlLi256Ef16rocblas_bfloat16PKPKS0_PKPS0_EviT2_lT3_lT_lT4_lSA_li.kd
    .uniform_work_group_size: 1
    .uses_dynamic_stack: false
    .vgpr_count:     7
    .vgpr_spill_count: 0
    .wavefront_size: 32
    .workgroup_processor_mode: 1
  - .args:
      - .offset:         0
        .size:           4
        .value_kind:     by_value
      - .address_space:  global
        .offset:         8
        .size:           8
        .value_kind:     global_buffer
      - .offset:         16
        .size:           8
        .value_kind:     by_value
      - .address_space:  global
        .offset:         24
        .size:           8
        .value_kind:     global_buffer
      - .offset:         32
        .size:           8
        .value_kind:     by_value
      - .offset:         40
        .size:           8
        .value_kind:     by_value
      - .address_space:  global
        .offset:         48
        .size:           8
        .value_kind:     global_buffer
      - .offset:         56
        .size:           8
        .value_kind:     by_value
      - .offset:         64
        .size:           8
        .value_kind:     by_value
      - .offset:         72
        .size:           4
        .value_kind:     by_value
    .group_segment_fixed_size: 0
    .kernarg_segment_align: 8
    .kernarg_segment_size: 76
    .language:       OpenCL C
    .language_version:
      - 2
      - 0
    .max_flat_workgroup_size: 256
    .name:           _ZL26rocblas_haxpy_mod_8_kernelILi256EPKfPKPK16rocblas_bfloat16PKPS2_EviT0_lT1_llT2_lli
    .private_segment_fixed_size: 0
    .sgpr_count:     18
    .sgpr_spill_count: 0
    .symbol:         _ZL26rocblas_haxpy_mod_8_kernelILi256EPKfPKPK16rocblas_bfloat16PKPS2_EviT0_lT1_llT2_lli.kd
    .uniform_work_group_size: 1
    .uses_dynamic_stack: false
    .vgpr_count:     5
    .vgpr_spill_count: 0
    .wavefront_size: 32
    .workgroup_processor_mode: 1
  - .args:
      - .offset:         0
        .size:           4
        .value_kind:     by_value
      - .offset:         4
        .size:           4
        .value_kind:     by_value
      - .offset:         8
        .size:           8
        .value_kind:     by_value
      - .address_space:  global
        .offset:         16
        .size:           8
        .value_kind:     global_buffer
      - .offset:         24
        .size:           8
        .value_kind:     by_value
      - .offset:         32
        .size:           8
        .value_kind:     by_value
      - .address_space:  global
        .offset:         40
        .size:           8
        .value_kind:     global_buffer
      - .offset:         48
        .size:           8
        .value_kind:     by_value
      - .offset:         56
        .size:           8
        .value_kind:     by_value
      - .offset:         64
        .size:           4
        .value_kind:     by_value
    .group_segment_fixed_size: 0
    .kernarg_segment_align: 8
    .kernarg_segment_size: 68
    .language:       OpenCL C
    .language_version:
      - 2
      - 0
    .max_flat_workgroup_size: 256
    .name:           _ZL26rocblas_haxpy_mod_8_kernelILi256EfPKPK16rocblas_bfloat16PKPS0_EviT0_lT1_llT2_lli
    .private_segment_fixed_size: 0
    .sgpr_count:     18
    .sgpr_spill_count: 0
    .symbol:         _ZL26rocblas_haxpy_mod_8_kernelILi256EfPKPK16rocblas_bfloat16PKPS0_EviT0_lT1_llT2_lli.kd
    .uniform_work_group_size: 1
    .uses_dynamic_stack: false
    .vgpr_count:     5
    .vgpr_spill_count: 0
    .wavefront_size: 32
    .workgroup_processor_mode: 1
  - .args:
      - .offset:         0
        .size:           4
        .value_kind:     by_value
      - .address_space:  global
        .offset:         8
        .size:           8
        .value_kind:     global_buffer
      - .offset:         16
        .size:           8
        .value_kind:     by_value
      - .actual_access:  read_only
        .address_space:  global
        .offset:         24
        .size:           8
        .value_kind:     global_buffer
      - .offset:         32
        .size:           8
        .value_kind:     by_value
      - .offset:         40
        .size:           8
        .value_kind:     by_value
      - .actual_access:  read_only
        .address_space:  global
        .offset:         48
        .size:           8
        .value_kind:     global_buffer
      - .offset:         56
        .size:           8
        .value_kind:     by_value
      - .offset:         64
        .size:           8
        .value_kind:     by_value
      - .offset:         72
        .size:           4
        .value_kind:     by_value
    .group_segment_fixed_size: 0
    .kernarg_segment_align: 8
    .kernarg_segment_size: 76
    .language:       OpenCL C
    .language_version:
      - 2
      - 0
    .max_flat_workgroup_size: 256
    .name:           _ZL22rocblas_saxpy_2_kernelILi256EfPKfPKPK16rocblas_bfloat16PKPS2_EviT1_lT2_llT3_lli
    .private_segment_fixed_size: 0
    .sgpr_count:     22
    .sgpr_spill_count: 0
    .symbol:         _ZL22rocblas_saxpy_2_kernelILi256EfPKfPKPK16rocblas_bfloat16PKPS2_EviT1_lT2_llT3_lli.kd
    .uniform_work_group_size: 1
    .uses_dynamic_stack: false
    .vgpr_count:     12
    .vgpr_spill_count: 0
    .wavefront_size: 32
    .workgroup_processor_mode: 1
  - .args:
      - .offset:         0
        .size:           4
        .value_kind:     by_value
      - .offset:         4
        .size:           4
        .value_kind:     by_value
      - .offset:         8
        .size:           8
        .value_kind:     by_value
      - .actual_access:  read_only
        .address_space:  global
        .offset:         16
        .size:           8
        .value_kind:     global_buffer
      - .offset:         24
        .size:           8
        .value_kind:     by_value
      - .offset:         32
        .size:           8
        .value_kind:     by_value
      - .actual_access:  read_only
        .address_space:  global
        .offset:         40
        .size:           8
        .value_kind:     global_buffer
      - .offset:         48
        .size:           8
        .value_kind:     by_value
      - .offset:         56
        .size:           8
        .value_kind:     by_value
      - .offset:         64
        .size:           4
        .value_kind:     by_value
    .group_segment_fixed_size: 0
    .kernarg_segment_align: 8
    .kernarg_segment_size: 68
    .language:       OpenCL C
    .language_version:
      - 2
      - 0
    .max_flat_workgroup_size: 256
    .name:           _ZL22rocblas_saxpy_2_kernelILi256EffPKPK16rocblas_bfloat16PKPS0_EviT1_lT2_llT3_lli
    .private_segment_fixed_size: 0
    .sgpr_count:     22
    .sgpr_spill_count: 0
    .symbol:         _ZL22rocblas_saxpy_2_kernelILi256EffPKPK16rocblas_bfloat16PKPS0_EviT1_lT2_llT3_lli.kd
    .uniform_work_group_size: 1
    .uses_dynamic_stack: false
    .vgpr_count:     12
    .vgpr_spill_count: 0
    .wavefront_size: 32
    .workgroup_processor_mode: 1
  - .args:
      - .offset:         0
        .size:           4
        .value_kind:     by_value
      - .address_space:  global
        .offset:         8
        .size:           8
        .value_kind:     global_buffer
      - .offset:         16
        .size:           8
        .value_kind:     by_value
      - .address_space:  global
        .offset:         24
        .size:           8
        .value_kind:     global_buffer
      - .offset:         32
        .size:           8
        .value_kind:     by_value
      - .offset:         40
        .size:           4
        .value_kind:     by_value
      - .offset:         48
        .size:           8
        .value_kind:     by_value
      - .address_space:  global
        .offset:         56
        .size:           8
        .value_kind:     global_buffer
      - .offset:         64
        .size:           8
        .value_kind:     by_value
      - .offset:         72
        .size:           4
        .value_kind:     by_value
      - .offset:         80
        .size:           8
        .value_kind:     by_value
      - .offset:         88
        .size:           4
        .value_kind:     by_value
    .group_segment_fixed_size: 0
    .kernarg_segment_align: 8
    .kernarg_segment_size: 92
    .language:       OpenCL C
    .language_version:
      - 2
      - 0
    .max_flat_workgroup_size: 1024
    .name:           _ZL27rocblas_axpy_kernel_batchedIiLi128ELi8EfPKfPKPK16rocblas_bfloat16PKPS2_EviT3_lT4_lT_lT5_lSC_li
    .private_segment_fixed_size: 0
    .sgpr_count:     18
    .sgpr_spill_count: 0
    .symbol:         _ZL27rocblas_axpy_kernel_batchedIiLi128ELi8EfPKfPKPK16rocblas_bfloat16PKPS2_EviT3_lT4_lT_lT5_lSC_li.kd
    .uniform_work_group_size: 1
    .uses_dynamic_stack: false
    .vgpr_count:     12
    .vgpr_spill_count: 0
    .wavefront_size: 32
    .workgroup_processor_mode: 1
  - .args:
      - .offset:         0
        .size:           4
        .value_kind:     by_value
      - .offset:         4
        .size:           4
        .value_kind:     by_value
      - .offset:         8
        .size:           8
        .value_kind:     by_value
      - .address_space:  global
        .offset:         16
        .size:           8
        .value_kind:     global_buffer
      - .offset:         24
        .size:           8
        .value_kind:     by_value
      - .offset:         32
        .size:           4
        .value_kind:     by_value
      - .offset:         40
        .size:           8
        .value_kind:     by_value
      - .address_space:  global
        .offset:         48
        .size:           8
        .value_kind:     global_buffer
      - .offset:         56
        .size:           8
        .value_kind:     by_value
      - .offset:         64
        .size:           4
        .value_kind:     by_value
      - .offset:         72
        .size:           8
        .value_kind:     by_value
      - .offset:         80
        .size:           4
        .value_kind:     by_value
    .group_segment_fixed_size: 0
    .kernarg_segment_align: 8
    .kernarg_segment_size: 84
    .language:       OpenCL C
    .language_version:
      - 2
      - 0
    .max_flat_workgroup_size: 1024
    .name:           _ZL27rocblas_axpy_kernel_batchedIiLi128ELi8EffPKPK16rocblas_bfloat16PKPS0_EviT3_lT4_lT_lT5_lSA_li
    .private_segment_fixed_size: 0
    .sgpr_count:     18
    .sgpr_spill_count: 0
    .symbol:         _ZL27rocblas_axpy_kernel_batchedIiLi128ELi8EffPKPK16rocblas_bfloat16PKPS0_EviT3_lT4_lT_lT5_lSA_li.kd
    .uniform_work_group_size: 1
    .uses_dynamic_stack: false
    .vgpr_count:     11
    .vgpr_spill_count: 0
    .wavefront_size: 32
    .workgroup_processor_mode: 1
  - .args:
      - .offset:         0
        .size:           4
        .value_kind:     by_value
      - .address_space:  global
        .offset:         8
        .size:           8
        .value_kind:     global_buffer
      - .offset:         16
        .size:           8
        .value_kind:     by_value
      - .actual_access:  read_only
        .address_space:  global
        .offset:         24
        .size:           8
        .value_kind:     global_buffer
      - .offset:         32
        .size:           8
        .value_kind:     by_value
      - .offset:         40
        .size:           4
        .value_kind:     by_value
      - .offset:         48
        .size:           8
        .value_kind:     by_value
      - .actual_access:  read_only
        .address_space:  global
        .offset:         56
        .size:           8
        .value_kind:     global_buffer
      - .offset:         64
        .size:           8
        .value_kind:     by_value
      - .offset:         72
        .size:           4
        .value_kind:     by_value
      - .offset:         80
        .size:           8
        .value_kind:     by_value
      - .offset:         88
        .size:           4
        .value_kind:     by_value
    .group_segment_fixed_size: 0
    .kernarg_segment_align: 8
    .kernarg_segment_size: 92
    .language:       OpenCL C
    .language_version:
      - 2
      - 0
    .max_flat_workgroup_size: 256
    .name:           _ZL19rocblas_axpy_kernelIiLi256EfPKfPKPK16rocblas_bfloat16PKPS2_EviT2_lT3_lT_lT4_lSC_li
    .private_segment_fixed_size: 0
    .sgpr_count:     18
    .sgpr_spill_count: 0
    .symbol:         _ZL19rocblas_axpy_kernelIiLi256EfPKfPKPK16rocblas_bfloat16PKPS2_EviT2_lT3_lT_lT4_lSC_li.kd
    .uniform_work_group_size: 1
    .uses_dynamic_stack: false
    .vgpr_count:     7
    .vgpr_spill_count: 0
    .wavefront_size: 32
    .workgroup_processor_mode: 1
  - .args:
      - .offset:         0
        .size:           4
        .value_kind:     by_value
      - .offset:         4
        .size:           4
        .value_kind:     by_value
      - .offset:         8
        .size:           8
        .value_kind:     by_value
      - .actual_access:  read_only
        .address_space:  global
        .offset:         16
        .size:           8
        .value_kind:     global_buffer
      - .offset:         24
        .size:           8
        .value_kind:     by_value
      - .offset:         32
        .size:           4
        .value_kind:     by_value
      - .offset:         40
        .size:           8
        .value_kind:     by_value
      - .actual_access:  read_only
        .address_space:  global
        .offset:         48
        .size:           8
        .value_kind:     global_buffer
      - .offset:         56
        .size:           8
        .value_kind:     by_value
      - .offset:         64
        .size:           4
        .value_kind:     by_value
      - .offset:         72
        .size:           8
        .value_kind:     by_value
      - .offset:         80
        .size:           4
        .value_kind:     by_value
    .group_segment_fixed_size: 0
    .kernarg_segment_align: 8
    .kernarg_segment_size: 84
    .language:       OpenCL C
    .language_version:
      - 2
      - 0
    .max_flat_workgroup_size: 256
    .name:           _ZL19rocblas_axpy_kernelIiLi256EffPKPK16rocblas_bfloat16PKPS0_EviT2_lT3_lT_lT4_lSA_li
    .private_segment_fixed_size: 0
    .sgpr_count:     19
    .sgpr_spill_count: 0
    .symbol:         _ZL19rocblas_axpy_kernelIiLi256EffPKPK16rocblas_bfloat16PKPS0_EviT2_lT3_lT_lT4_lSA_li.kd
    .uniform_work_group_size: 1
    .uses_dynamic_stack: false
    .vgpr_count:     7
    .vgpr_spill_count: 0
    .wavefront_size: 32
    .workgroup_processor_mode: 1
  - .args:
      - .offset:         0
        .size:           4
        .value_kind:     by_value
      - .address_space:  global
        .offset:         8
        .size:           8
        .value_kind:     global_buffer
      - .offset:         16
        .size:           8
        .value_kind:     by_value
      - .actual_access:  read_only
        .address_space:  global
        .offset:         24
        .size:           8
        .value_kind:     global_buffer
      - .offset:         32
        .size:           8
        .value_kind:     by_value
      - .offset:         40
        .size:           8
        .value_kind:     by_value
      - .offset:         48
        .size:           8
        .value_kind:     by_value
      - .actual_access:  read_only
        .address_space:  global
        .offset:         56
        .size:           8
        .value_kind:     global_buffer
      - .offset:         64
        .size:           8
        .value_kind:     by_value
      - .offset:         72
        .size:           8
        .value_kind:     by_value
      - .offset:         80
        .size:           8
        .value_kind:     by_value
      - .offset:         88
        .size:           4
        .value_kind:     by_value
    .group_segment_fixed_size: 0
    .kernarg_segment_align: 8
    .kernarg_segment_size: 92
    .language:       OpenCL C
    .language_version:
      - 2
      - 0
    .max_flat_workgroup_size: 256
    .name:           _ZL19rocblas_axpy_kernelIlLi256EfPKfPKPK16rocblas_bfloat16PKPS2_EviT2_lT3_lT_lT4_lSC_li
    .private_segment_fixed_size: 0
    .sgpr_count:     18
    .sgpr_spill_count: 0
    .symbol:         _ZL19rocblas_axpy_kernelIlLi256EfPKfPKPK16rocblas_bfloat16PKPS2_EviT2_lT3_lT_lT4_lSC_li.kd
    .uniform_work_group_size: 1
    .uses_dynamic_stack: false
    .vgpr_count:     7
    .vgpr_spill_count: 0
    .wavefront_size: 32
    .workgroup_processor_mode: 1
  - .args:
      - .offset:         0
        .size:           4
        .value_kind:     by_value
      - .offset:         4
        .size:           4
        .value_kind:     by_value
      - .offset:         8
        .size:           8
        .value_kind:     by_value
      - .actual_access:  read_only
        .address_space:  global
        .offset:         16
        .size:           8
        .value_kind:     global_buffer
      - .offset:         24
        .size:           8
        .value_kind:     by_value
      - .offset:         32
        .size:           8
        .value_kind:     by_value
      - .offset:         40
        .size:           8
        .value_kind:     by_value
      - .actual_access:  read_only
        .address_space:  global
        .offset:         48
        .size:           8
        .value_kind:     global_buffer
      - .offset:         56
        .size:           8
        .value_kind:     by_value
      - .offset:         64
        .size:           8
        .value_kind:     by_value
      - .offset:         72
        .size:           8
        .value_kind:     by_value
      - .offset:         80
        .size:           4
        .value_kind:     by_value
    .group_segment_fixed_size: 0
    .kernarg_segment_align: 8
    .kernarg_segment_size: 84
    .language:       OpenCL C
    .language_version:
      - 2
      - 0
    .max_flat_workgroup_size: 256
    .name:           _ZL19rocblas_axpy_kernelIlLi256EffPKPK16rocblas_bfloat16PKPS0_EviT2_lT3_lT_lT4_lSA_li
    .private_segment_fixed_size: 0
    .sgpr_count:     18
    .sgpr_spill_count: 0
    .symbol:         _ZL19rocblas_axpy_kernelIlLi256EffPKPK16rocblas_bfloat16PKPS0_EviT2_lT3_lT_lT4_lSA_li.kd
    .uniform_work_group_size: 1
    .uses_dynamic_stack: false
    .vgpr_count:     7
    .vgpr_spill_count: 0
    .wavefront_size: 32
    .workgroup_processor_mode: 1
  - .args:
      - .offset:         0
        .size:           4
        .value_kind:     by_value
      - .address_space:  global
        .offset:         8
        .size:           8
        .value_kind:     global_buffer
      - .offset:         16
        .size:           8
        .value_kind:     by_value
      - .actual_access:  read_only
        .address_space:  global
        .offset:         24
        .size:           8
        .value_kind:     global_buffer
      - .offset:         32
        .size:           8
        .value_kind:     by_value
      - .offset:         40
        .size:           8
        .value_kind:     by_value
      - .actual_access:  read_only
        .address_space:  global
        .offset:         48
        .size:           8
        .value_kind:     global_buffer
      - .offset:         56
        .size:           8
        .value_kind:     by_value
      - .offset:         64
        .size:           8
        .value_kind:     by_value
      - .offset:         72
        .size:           4
        .value_kind:     by_value
    .group_segment_fixed_size: 0
    .kernarg_segment_align: 8
    .kernarg_segment_size: 76
    .language:       OpenCL C
    .language_version:
      - 2
      - 0
    .max_flat_workgroup_size: 256
    .name:           _ZL22rocblas_saxpy_2_kernelILi256EfPKDF16_PKS1_PKPDF16_EviT1_lT2_llT3_lli
    .private_segment_fixed_size: 0
    .sgpr_count:     22
    .sgpr_spill_count: 0
    .symbol:         _ZL22rocblas_saxpy_2_kernelILi256EfPKDF16_PKS1_PKPDF16_EviT1_lT2_llT3_lli.kd
    .uniform_work_group_size: 1
    .uses_dynamic_stack: false
    .vgpr_count:     11
    .vgpr_spill_count: 0
    .wavefront_size: 32
    .workgroup_processor_mode: 1
  - .args:
      - .offset:         0
        .size:           4
        .value_kind:     by_value
      - .offset:         4
        .size:           2
        .value_kind:     by_value
      - .offset:         8
        .size:           8
        .value_kind:     by_value
      - .actual_access:  read_only
        .address_space:  global
        .offset:         16
        .size:           8
        .value_kind:     global_buffer
      - .offset:         24
        .size:           8
        .value_kind:     by_value
      - .offset:         32
        .size:           8
        .value_kind:     by_value
      - .actual_access:  read_only
        .address_space:  global
        .offset:         40
        .size:           8
        .value_kind:     global_buffer
      - .offset:         48
        .size:           8
        .value_kind:     by_value
      - .offset:         56
        .size:           8
        .value_kind:     by_value
      - .offset:         64
        .size:           4
        .value_kind:     by_value
    .group_segment_fixed_size: 0
    .kernarg_segment_align: 8
    .kernarg_segment_size: 68
    .language:       OpenCL C
    .language_version:
      - 2
      - 0
    .max_flat_workgroup_size: 256
    .name:           _ZL22rocblas_saxpy_2_kernelILi256EfDF16_PKPKDF16_PKPDF16_EviT1_lT2_llT3_lli
    .private_segment_fixed_size: 0
    .sgpr_count:     22
    .sgpr_spill_count: 0
    .symbol:         _ZL22rocblas_saxpy_2_kernelILi256EfDF16_PKPKDF16_PKPDF16_EviT1_lT2_llT3_lli.kd
    .uniform_work_group_size: 1
    .uses_dynamic_stack: false
    .vgpr_count:     10
    .vgpr_spill_count: 0
    .wavefront_size: 32
    .workgroup_processor_mode: 1
  - .args:
      - .offset:         0
        .size:           4
        .value_kind:     by_value
      - .address_space:  global
        .offset:         8
        .size:           8
        .value_kind:     global_buffer
      - .offset:         16
        .size:           8
        .value_kind:     by_value
      - .address_space:  global
        .offset:         24
        .size:           8
        .value_kind:     global_buffer
      - .offset:         32
        .size:           8
        .value_kind:     by_value
      - .offset:         40
        .size:           4
        .value_kind:     by_value
      - .offset:         48
        .size:           8
        .value_kind:     by_value
      - .address_space:  global
        .offset:         56
        .size:           8
        .value_kind:     global_buffer
      - .offset:         64
        .size:           8
        .value_kind:     by_value
      - .offset:         72
        .size:           4
        .value_kind:     by_value
      - .offset:         80
        .size:           8
        .value_kind:     by_value
      - .offset:         88
        .size:           4
        .value_kind:     by_value
    .group_segment_fixed_size: 0
    .kernarg_segment_align: 8
    .kernarg_segment_size: 92
    .language:       OpenCL C
    .language_version:
      - 2
      - 0
    .max_flat_workgroup_size: 1024
    .name:           _ZL27rocblas_axpy_kernel_batchedIiLi128ELi8EfPKDF16_PKS1_PKPDF16_EviT3_lT4_lT_lT5_lS9_li
    .private_segment_fixed_size: 0
    .sgpr_count:     20
    .sgpr_spill_count: 0
    .symbol:         _ZL27rocblas_axpy_kernel_batchedIiLi128ELi8EfPKDF16_PKS1_PKPDF16_EviT3_lT4_lT_lT5_lS9_li.kd
    .uniform_work_group_size: 1
    .uses_dynamic_stack: false
    .vgpr_count:     14
    .vgpr_spill_count: 0
    .wavefront_size: 32
    .workgroup_processor_mode: 1
  - .args:
      - .offset:         0
        .size:           4
        .value_kind:     by_value
      - .offset:         4
        .size:           2
        .value_kind:     by_value
      - .offset:         8
        .size:           8
        .value_kind:     by_value
      - .address_space:  global
        .offset:         16
        .size:           8
        .value_kind:     global_buffer
      - .offset:         24
        .size:           8
        .value_kind:     by_value
      - .offset:         32
        .size:           4
        .value_kind:     by_value
      - .offset:         40
        .size:           8
        .value_kind:     by_value
      - .address_space:  global
        .offset:         48
        .size:           8
        .value_kind:     global_buffer
      - .offset:         56
        .size:           8
        .value_kind:     by_value
      - .offset:         64
        .size:           4
        .value_kind:     by_value
      - .offset:         72
        .size:           8
        .value_kind:     by_value
      - .offset:         80
        .size:           4
        .value_kind:     by_value
    .group_segment_fixed_size: 0
    .kernarg_segment_align: 8
    .kernarg_segment_size: 84
    .language:       OpenCL C
    .language_version:
      - 2
      - 0
    .max_flat_workgroup_size: 1024
    .name:           _ZL27rocblas_axpy_kernel_batchedIiLi128ELi8EfDF16_PKPKDF16_PKPDF16_EviT3_lT4_lT_lT5_lS9_li
    .private_segment_fixed_size: 0
    .sgpr_count:     18
    .sgpr_spill_count: 0
    .symbol:         _ZL27rocblas_axpy_kernel_batchedIiLi128ELi8EfDF16_PKPKDF16_PKPDF16_EviT3_lT4_lT_lT5_lS9_li.kd
    .uniform_work_group_size: 1
    .uses_dynamic_stack: false
    .vgpr_count:     12
    .vgpr_spill_count: 0
    .wavefront_size: 32
    .workgroup_processor_mode: 1
  - .args:
      - .offset:         0
        .size:           4
        .value_kind:     by_value
      - .address_space:  global
        .offset:         8
        .size:           8
        .value_kind:     global_buffer
      - .offset:         16
        .size:           8
        .value_kind:     by_value
      - .actual_access:  read_only
        .address_space:  global
        .offset:         24
        .size:           8
        .value_kind:     global_buffer
      - .offset:         32
        .size:           8
        .value_kind:     by_value
      - .offset:         40
        .size:           4
        .value_kind:     by_value
      - .offset:         48
        .size:           8
        .value_kind:     by_value
      - .actual_access:  read_only
        .address_space:  global
        .offset:         56
        .size:           8
        .value_kind:     global_buffer
      - .offset:         64
        .size:           8
        .value_kind:     by_value
      - .offset:         72
        .size:           4
        .value_kind:     by_value
      - .offset:         80
        .size:           8
        .value_kind:     by_value
      - .offset:         88
        .size:           4
        .value_kind:     by_value
    .group_segment_fixed_size: 0
    .kernarg_segment_align: 8
    .kernarg_segment_size: 92
    .language:       OpenCL C
    .language_version:
      - 2
      - 0
    .max_flat_workgroup_size: 256
    .name:           _ZL19rocblas_axpy_kernelIiLi256EfPKDF16_PKS1_PKPDF16_EviT2_lT3_lT_lT4_lS9_li
    .private_segment_fixed_size: 0
    .sgpr_count:     18
    .sgpr_spill_count: 0
    .symbol:         _ZL19rocblas_axpy_kernelIiLi256EfPKDF16_PKS1_PKPDF16_EviT2_lT3_lT_lT4_lS9_li.kd
    .uniform_work_group_size: 1
    .uses_dynamic_stack: false
    .vgpr_count:     9
    .vgpr_spill_count: 0
    .wavefront_size: 32
    .workgroup_processor_mode: 1
  - .args:
      - .offset:         0
        .size:           4
        .value_kind:     by_value
      - .offset:         4
        .size:           2
        .value_kind:     by_value
      - .offset:         8
        .size:           8
        .value_kind:     by_value
      - .actual_access:  read_only
        .address_space:  global
        .offset:         16
        .size:           8
        .value_kind:     global_buffer
      - .offset:         24
        .size:           8
        .value_kind:     by_value
      - .offset:         32
        .size:           4
        .value_kind:     by_value
      - .offset:         40
        .size:           8
        .value_kind:     by_value
      - .actual_access:  read_only
        .address_space:  global
        .offset:         48
        .size:           8
        .value_kind:     global_buffer
      - .offset:         56
        .size:           8
        .value_kind:     by_value
      - .offset:         64
        .size:           4
        .value_kind:     by_value
      - .offset:         72
        .size:           8
        .value_kind:     by_value
      - .offset:         80
        .size:           4
        .value_kind:     by_value
    .group_segment_fixed_size: 0
    .kernarg_segment_align: 8
    .kernarg_segment_size: 84
    .language:       OpenCL C
    .language_version:
      - 2
      - 0
    .max_flat_workgroup_size: 256
    .name:           _ZL19rocblas_axpy_kernelIiLi256EfDF16_PKPKDF16_PKPDF16_EviT2_lT3_lT_lT4_lS9_li
    .private_segment_fixed_size: 0
    .sgpr_count:     19
    .sgpr_spill_count: 0
    .symbol:         _ZL19rocblas_axpy_kernelIiLi256EfDF16_PKPKDF16_PKPDF16_EviT2_lT3_lT_lT4_lS9_li.kd
    .uniform_work_group_size: 1
    .uses_dynamic_stack: false
    .vgpr_count:     8
    .vgpr_spill_count: 0
    .wavefront_size: 32
    .workgroup_processor_mode: 1
  - .args:
      - .offset:         0
        .size:           4
        .value_kind:     by_value
      - .address_space:  global
        .offset:         8
        .size:           8
        .value_kind:     global_buffer
      - .offset:         16
        .size:           8
        .value_kind:     by_value
      - .actual_access:  read_only
        .address_space:  global
        .offset:         24
        .size:           8
        .value_kind:     global_buffer
      - .offset:         32
        .size:           8
        .value_kind:     by_value
      - .offset:         40
        .size:           8
        .value_kind:     by_value
      - .offset:         48
        .size:           8
        .value_kind:     by_value
      - .actual_access:  read_only
        .address_space:  global
        .offset:         56
        .size:           8
        .value_kind:     global_buffer
      - .offset:         64
        .size:           8
        .value_kind:     by_value
      - .offset:         72
        .size:           8
        .value_kind:     by_value
      - .offset:         80
        .size:           8
        .value_kind:     by_value
      - .offset:         88
        .size:           4
        .value_kind:     by_value
    .group_segment_fixed_size: 0
    .kernarg_segment_align: 8
    .kernarg_segment_size: 92
    .language:       OpenCL C
    .language_version:
      - 2
      - 0
    .max_flat_workgroup_size: 256
    .name:           _ZL19rocblas_axpy_kernelIlLi256EfPKDF16_PKS1_PKPDF16_EviT2_lT3_lT_lT4_lS9_li
    .private_segment_fixed_size: 0
    .sgpr_count:     18
    .sgpr_spill_count: 0
    .symbol:         _ZL19rocblas_axpy_kernelIlLi256EfPKDF16_PKS1_PKPDF16_EviT2_lT3_lT_lT4_lS9_li.kd
    .uniform_work_group_size: 1
    .uses_dynamic_stack: false
    .vgpr_count:     9
    .vgpr_spill_count: 0
    .wavefront_size: 32
    .workgroup_processor_mode: 1
  - .args:
      - .offset:         0
        .size:           4
        .value_kind:     by_value
      - .offset:         4
        .size:           2
        .value_kind:     by_value
      - .offset:         8
        .size:           8
        .value_kind:     by_value
      - .actual_access:  read_only
        .address_space:  global
        .offset:         16
        .size:           8
        .value_kind:     global_buffer
      - .offset:         24
        .size:           8
        .value_kind:     by_value
      - .offset:         32
        .size:           8
        .value_kind:     by_value
      - .offset:         40
        .size:           8
        .value_kind:     by_value
      - .actual_access:  read_only
        .address_space:  global
        .offset:         48
        .size:           8
        .value_kind:     global_buffer
      - .offset:         56
        .size:           8
        .value_kind:     by_value
      - .offset:         64
        .size:           8
        .value_kind:     by_value
      - .offset:         72
        .size:           8
        .value_kind:     by_value
      - .offset:         80
        .size:           4
        .value_kind:     by_value
    .group_segment_fixed_size: 0
    .kernarg_segment_align: 8
    .kernarg_segment_size: 84
    .language:       OpenCL C
    .language_version:
      - 2
      - 0
    .max_flat_workgroup_size: 256
    .name:           _ZL19rocblas_axpy_kernelIlLi256EfDF16_PKPKDF16_PKPDF16_EviT2_lT3_lT_lT4_lS9_li
    .private_segment_fixed_size: 0
    .sgpr_count:     18
    .sgpr_spill_count: 0
    .symbol:         _ZL19rocblas_axpy_kernelIlLi256EfDF16_PKPKDF16_PKPDF16_EviT2_lT3_lT_lT4_lS9_li.kd
    .uniform_work_group_size: 1
    .uses_dynamic_stack: false
    .vgpr_count:     8
    .vgpr_spill_count: 0
    .wavefront_size: 32
    .workgroup_processor_mode: 1
  - .args:
      - .offset:         0
        .size:           4
        .value_kind:     by_value
      - .address_space:  global
        .offset:         8
        .size:           8
        .value_kind:     global_buffer
      - .offset:         16
        .size:           8
        .value_kind:     by_value
      - .address_space:  global
        .offset:         24
        .size:           8
        .value_kind:     global_buffer
      - .offset:         32
        .size:           8
        .value_kind:     by_value
      - .offset:         40
        .size:           8
        .value_kind:     by_value
      - .address_space:  global
        .offset:         48
        .size:           8
        .value_kind:     global_buffer
      - .offset:         56
        .size:           8
        .value_kind:     by_value
      - .offset:         64
        .size:           8
        .value_kind:     by_value
      - .offset:         72
        .size:           4
        .value_kind:     by_value
    .group_segment_fixed_size: 0
    .kernarg_segment_align: 8
    .kernarg_segment_size: 76
    .language:       OpenCL C
    .language_version:
      - 2
      - 0
    .max_flat_workgroup_size: 256
    .name:           _ZL26rocblas_haxpy_mod_8_kernelILi256EPKfPKPKDF16_PKPDF16_EviT0_lT1_llT2_lli
    .private_segment_fixed_size: 0
    .sgpr_count:     18
    .sgpr_spill_count: 0
    .symbol:         _ZL26rocblas_haxpy_mod_8_kernelILi256EPKfPKPKDF16_PKPDF16_EviT0_lT1_llT2_lli.kd
    .uniform_work_group_size: 1
    .uses_dynamic_stack: false
    .vgpr_count:     4
    .vgpr_spill_count: 0
    .wavefront_size: 32
    .workgroup_processor_mode: 1
  - .args:
      - .offset:         0
        .size:           4
        .value_kind:     by_value
      - .offset:         4
        .size:           4
        .value_kind:     by_value
      - .offset:         8
        .size:           8
        .value_kind:     by_value
      - .address_space:  global
        .offset:         16
        .size:           8
        .value_kind:     global_buffer
      - .offset:         24
        .size:           8
        .value_kind:     by_value
      - .offset:         32
        .size:           8
        .value_kind:     by_value
      - .address_space:  global
        .offset:         40
        .size:           8
        .value_kind:     global_buffer
      - .offset:         48
        .size:           8
        .value_kind:     by_value
      - .offset:         56
        .size:           8
        .value_kind:     by_value
      - .offset:         64
        .size:           4
        .value_kind:     by_value
    .group_segment_fixed_size: 0
    .kernarg_segment_align: 8
    .kernarg_segment_size: 68
    .language:       OpenCL C
    .language_version:
      - 2
      - 0
    .max_flat_workgroup_size: 256
    .name:           _ZL26rocblas_haxpy_mod_8_kernelILi256EfPKPKDF16_PKPDF16_EviT0_lT1_llT2_lli
    .private_segment_fixed_size: 0
    .sgpr_count:     18
    .sgpr_spill_count: 0
    .symbol:         _ZL26rocblas_haxpy_mod_8_kernelILi256EfPKPKDF16_PKPDF16_EviT0_lT1_llT2_lli.kd
    .uniform_work_group_size: 1
    .uses_dynamic_stack: false
    .vgpr_count:     4
    .vgpr_spill_count: 0
    .wavefront_size: 32
    .workgroup_processor_mode: 1
  - .args:
      - .offset:         0
        .size:           4
        .value_kind:     by_value
      - .address_space:  global
        .offset:         8
        .size:           8
        .value_kind:     global_buffer
      - .offset:         16
        .size:           8
        .value_kind:     by_value
      - .actual_access:  read_only
        .address_space:  global
        .offset:         24
        .size:           8
        .value_kind:     global_buffer
      - .offset:         32
        .size:           8
        .value_kind:     by_value
      - .offset:         40
        .size:           8
        .value_kind:     by_value
      - .actual_access:  read_only
        .address_space:  global
        .offset:         48
        .size:           8
        .value_kind:     global_buffer
      - .offset:         56
        .size:           8
        .value_kind:     by_value
      - .offset:         64
        .size:           8
        .value_kind:     by_value
      - .offset:         72
        .size:           4
        .value_kind:     by_value
    .group_segment_fixed_size: 0
    .kernarg_segment_align: 8
    .kernarg_segment_size: 76
    .language:       OpenCL C
    .language_version:
      - 2
      - 0
    .max_flat_workgroup_size: 256
    .name:           _ZL22rocblas_saxpy_2_kernelILi256EfPKfPKPKDF16_PKPDF16_EviT1_lT2_llT3_lli
    .private_segment_fixed_size: 0
    .sgpr_count:     22
    .sgpr_spill_count: 0
    .symbol:         _ZL22rocblas_saxpy_2_kernelILi256EfPKfPKPKDF16_PKPDF16_EviT1_lT2_llT3_lli.kd
    .uniform_work_group_size: 1
    .uses_dynamic_stack: false
    .vgpr_count:     10
    .vgpr_spill_count: 0
    .wavefront_size: 32
    .workgroup_processor_mode: 1
  - .args:
      - .offset:         0
        .size:           4
        .value_kind:     by_value
      - .offset:         4
        .size:           4
        .value_kind:     by_value
      - .offset:         8
        .size:           8
        .value_kind:     by_value
      - .actual_access:  read_only
        .address_space:  global
        .offset:         16
        .size:           8
        .value_kind:     global_buffer
      - .offset:         24
        .size:           8
        .value_kind:     by_value
      - .offset:         32
        .size:           8
        .value_kind:     by_value
      - .actual_access:  read_only
        .address_space:  global
        .offset:         40
        .size:           8
        .value_kind:     global_buffer
      - .offset:         48
        .size:           8
        .value_kind:     by_value
      - .offset:         56
        .size:           8
        .value_kind:     by_value
      - .offset:         64
        .size:           4
        .value_kind:     by_value
    .group_segment_fixed_size: 0
    .kernarg_segment_align: 8
    .kernarg_segment_size: 68
    .language:       OpenCL C
    .language_version:
      - 2
      - 0
    .max_flat_workgroup_size: 256
    .name:           _ZL22rocblas_saxpy_2_kernelILi256EffPKPKDF16_PKPDF16_EviT1_lT2_llT3_lli
    .private_segment_fixed_size: 0
    .sgpr_count:     22
    .sgpr_spill_count: 0
    .symbol:         _ZL22rocblas_saxpy_2_kernelILi256EffPKPKDF16_PKPDF16_EviT1_lT2_llT3_lli.kd
    .uniform_work_group_size: 1
    .uses_dynamic_stack: false
    .vgpr_count:     10
    .vgpr_spill_count: 0
    .wavefront_size: 32
    .workgroup_processor_mode: 1
  - .args:
      - .offset:         0
        .size:           4
        .value_kind:     by_value
      - .address_space:  global
        .offset:         8
        .size:           8
        .value_kind:     global_buffer
      - .offset:         16
        .size:           8
        .value_kind:     by_value
      - .address_space:  global
        .offset:         24
        .size:           8
        .value_kind:     global_buffer
      - .offset:         32
        .size:           8
        .value_kind:     by_value
      - .offset:         40
        .size:           4
        .value_kind:     by_value
      - .offset:         48
        .size:           8
        .value_kind:     by_value
      - .address_space:  global
        .offset:         56
        .size:           8
        .value_kind:     global_buffer
      - .offset:         64
        .size:           8
        .value_kind:     by_value
      - .offset:         72
        .size:           4
        .value_kind:     by_value
      - .offset:         80
        .size:           8
        .value_kind:     by_value
      - .offset:         88
        .size:           4
        .value_kind:     by_value
    .group_segment_fixed_size: 0
    .kernarg_segment_align: 8
    .kernarg_segment_size: 92
    .language:       OpenCL C
    .language_version:
      - 2
      - 0
    .max_flat_workgroup_size: 1024
    .name:           _ZL27rocblas_axpy_kernel_batchedIiLi128ELi8EfPKfPKPKDF16_PKPDF16_EviT3_lT4_lT_lT5_lSB_li
    .private_segment_fixed_size: 0
    .sgpr_count:     20
    .sgpr_spill_count: 0
    .symbol:         _ZL27rocblas_axpy_kernel_batchedIiLi128ELi8EfPKfPKPKDF16_PKPDF16_EviT3_lT4_lT_lT5_lSB_li.kd
    .uniform_work_group_size: 1
    .uses_dynamic_stack: false
    .vgpr_count:     14
    .vgpr_spill_count: 0
    .wavefront_size: 32
    .workgroup_processor_mode: 1
  - .args:
      - .offset:         0
        .size:           4
        .value_kind:     by_value
      - .offset:         4
        .size:           4
        .value_kind:     by_value
      - .offset:         8
        .size:           8
        .value_kind:     by_value
      - .address_space:  global
        .offset:         16
        .size:           8
        .value_kind:     global_buffer
      - .offset:         24
        .size:           8
        .value_kind:     by_value
      - .offset:         32
        .size:           4
        .value_kind:     by_value
      - .offset:         40
        .size:           8
        .value_kind:     by_value
      - .address_space:  global
        .offset:         48
        .size:           8
        .value_kind:     global_buffer
      - .offset:         56
        .size:           8
        .value_kind:     by_value
      - .offset:         64
        .size:           4
        .value_kind:     by_value
      - .offset:         72
        .size:           8
        .value_kind:     by_value
      - .offset:         80
        .size:           4
        .value_kind:     by_value
    .group_segment_fixed_size: 0
    .kernarg_segment_align: 8
    .kernarg_segment_size: 84
    .language:       OpenCL C
    .language_version:
      - 2
      - 0
    .max_flat_workgroup_size: 1024
    .name:           _ZL27rocblas_axpy_kernel_batchedIiLi128ELi8EffPKPKDF16_PKPDF16_EviT3_lT4_lT_lT5_lS9_li
    .private_segment_fixed_size: 0
    .sgpr_count:     18
    .sgpr_spill_count: 0
    .symbol:         _ZL27rocblas_axpy_kernel_batchedIiLi128ELi8EffPKPKDF16_PKPDF16_EviT3_lT4_lT_lT5_lS9_li.kd
    .uniform_work_group_size: 1
    .uses_dynamic_stack: false
    .vgpr_count:     11
    .vgpr_spill_count: 0
    .wavefront_size: 32
    .workgroup_processor_mode: 1
  - .args:
      - .offset:         0
        .size:           4
        .value_kind:     by_value
      - .address_space:  global
        .offset:         8
        .size:           8
        .value_kind:     global_buffer
      - .offset:         16
        .size:           8
        .value_kind:     by_value
      - .actual_access:  read_only
        .address_space:  global
        .offset:         24
        .size:           8
        .value_kind:     global_buffer
      - .offset:         32
        .size:           8
        .value_kind:     by_value
      - .offset:         40
        .size:           4
        .value_kind:     by_value
      - .offset:         48
        .size:           8
        .value_kind:     by_value
      - .actual_access:  read_only
        .address_space:  global
        .offset:         56
        .size:           8
        .value_kind:     global_buffer
      - .offset:         64
        .size:           8
        .value_kind:     by_value
      - .offset:         72
        .size:           4
        .value_kind:     by_value
      - .offset:         80
        .size:           8
        .value_kind:     by_value
      - .offset:         88
        .size:           4
        .value_kind:     by_value
    .group_segment_fixed_size: 0
    .kernarg_segment_align: 8
    .kernarg_segment_size: 92
    .language:       OpenCL C
    .language_version:
      - 2
      - 0
    .max_flat_workgroup_size: 256
    .name:           _ZL19rocblas_axpy_kernelIiLi256EfPKfPKPKDF16_PKPDF16_EviT2_lT3_lT_lT4_lSB_li
    .private_segment_fixed_size: 0
    .sgpr_count:     18
    .sgpr_spill_count: 0
    .symbol:         _ZL19rocblas_axpy_kernelIiLi256EfPKfPKPKDF16_PKPDF16_EviT2_lT3_lT_lT4_lSB_li.kd
    .uniform_work_group_size: 1
    .uses_dynamic_stack: false
    .vgpr_count:     8
    .vgpr_spill_count: 0
    .wavefront_size: 32
    .workgroup_processor_mode: 1
  - .args:
      - .offset:         0
        .size:           4
        .value_kind:     by_value
      - .offset:         4
        .size:           4
        .value_kind:     by_value
      - .offset:         8
        .size:           8
        .value_kind:     by_value
      - .actual_access:  read_only
        .address_space:  global
        .offset:         16
        .size:           8
        .value_kind:     global_buffer
      - .offset:         24
        .size:           8
        .value_kind:     by_value
      - .offset:         32
        .size:           4
        .value_kind:     by_value
      - .offset:         40
        .size:           8
        .value_kind:     by_value
      - .actual_access:  read_only
        .address_space:  global
        .offset:         48
        .size:           8
        .value_kind:     global_buffer
      - .offset:         56
        .size:           8
        .value_kind:     by_value
      - .offset:         64
        .size:           4
        .value_kind:     by_value
      - .offset:         72
        .size:           8
        .value_kind:     by_value
      - .offset:         80
        .size:           4
        .value_kind:     by_value
    .group_segment_fixed_size: 0
    .kernarg_segment_align: 8
    .kernarg_segment_size: 84
    .language:       OpenCL C
    .language_version:
      - 2
      - 0
    .max_flat_workgroup_size: 256
    .name:           _ZL19rocblas_axpy_kernelIiLi256EffPKPKDF16_PKPDF16_EviT2_lT3_lT_lT4_lS9_li
    .private_segment_fixed_size: 0
    .sgpr_count:     19
    .sgpr_spill_count: 0
    .symbol:         _ZL19rocblas_axpy_kernelIiLi256EffPKPKDF16_PKPDF16_EviT2_lT3_lT_lT4_lS9_li.kd
    .uniform_work_group_size: 1
    .uses_dynamic_stack: false
    .vgpr_count:     8
    .vgpr_spill_count: 0
    .wavefront_size: 32
    .workgroup_processor_mode: 1
  - .args:
      - .offset:         0
        .size:           4
        .value_kind:     by_value
      - .address_space:  global
        .offset:         8
        .size:           8
        .value_kind:     global_buffer
      - .offset:         16
        .size:           8
        .value_kind:     by_value
      - .actual_access:  read_only
        .address_space:  global
        .offset:         24
        .size:           8
        .value_kind:     global_buffer
      - .offset:         32
        .size:           8
        .value_kind:     by_value
      - .offset:         40
        .size:           8
        .value_kind:     by_value
      - .offset:         48
        .size:           8
        .value_kind:     by_value
      - .actual_access:  read_only
        .address_space:  global
        .offset:         56
        .size:           8
        .value_kind:     global_buffer
      - .offset:         64
        .size:           8
        .value_kind:     by_value
      - .offset:         72
        .size:           8
        .value_kind:     by_value
      - .offset:         80
        .size:           8
        .value_kind:     by_value
      - .offset:         88
        .size:           4
        .value_kind:     by_value
    .group_segment_fixed_size: 0
    .kernarg_segment_align: 8
    .kernarg_segment_size: 92
    .language:       OpenCL C
    .language_version:
      - 2
      - 0
    .max_flat_workgroup_size: 256
    .name:           _ZL19rocblas_axpy_kernelIlLi256EfPKfPKPKDF16_PKPDF16_EviT2_lT3_lT_lT4_lSB_li
    .private_segment_fixed_size: 0
    .sgpr_count:     18
    .sgpr_spill_count: 0
    .symbol:         _ZL19rocblas_axpy_kernelIlLi256EfPKfPKPKDF16_PKPDF16_EviT2_lT3_lT_lT4_lSB_li.kd
    .uniform_work_group_size: 1
    .uses_dynamic_stack: false
    .vgpr_count:     8
    .vgpr_spill_count: 0
    .wavefront_size: 32
    .workgroup_processor_mode: 1
  - .args:
      - .offset:         0
        .size:           4
        .value_kind:     by_value
      - .offset:         4
        .size:           4
        .value_kind:     by_value
      - .offset:         8
        .size:           8
        .value_kind:     by_value
      - .actual_access:  read_only
        .address_space:  global
        .offset:         16
        .size:           8
        .value_kind:     global_buffer
      - .offset:         24
        .size:           8
        .value_kind:     by_value
      - .offset:         32
        .size:           8
        .value_kind:     by_value
      - .offset:         40
        .size:           8
        .value_kind:     by_value
      - .actual_access:  read_only
        .address_space:  global
        .offset:         48
        .size:           8
        .value_kind:     global_buffer
      - .offset:         56
        .size:           8
        .value_kind:     by_value
      - .offset:         64
        .size:           8
        .value_kind:     by_value
      - .offset:         72
        .size:           8
        .value_kind:     by_value
      - .offset:         80
        .size:           4
        .value_kind:     by_value
    .group_segment_fixed_size: 0
    .kernarg_segment_align: 8
    .kernarg_segment_size: 84
    .language:       OpenCL C
    .language_version:
      - 2
      - 0
    .max_flat_workgroup_size: 256
    .name:           _ZL19rocblas_axpy_kernelIlLi256EffPKPKDF16_PKPDF16_EviT2_lT3_lT_lT4_lS9_li
    .private_segment_fixed_size: 0
    .sgpr_count:     18
    .sgpr_spill_count: 0
    .symbol:         _ZL19rocblas_axpy_kernelIlLi256EffPKPKDF16_PKPDF16_EviT2_lT3_lT_lT4_lS9_li.kd
    .uniform_work_group_size: 1
    .uses_dynamic_stack: false
    .vgpr_count:     8
    .vgpr_spill_count: 0
    .wavefront_size: 32
    .workgroup_processor_mode: 1
amdhsa.target:   amdgcn-amd-amdhsa--gfx1100
amdhsa.version:
  - 1
  - 2
...

	.end_amdgpu_metadata
